;; amdgpu-corpus repo=ROCm/rocFFT kind=compiled arch=gfx906 opt=O3
	.text
	.amdgcn_target "amdgcn-amd-amdhsa--gfx906"
	.amdhsa_code_object_version 6
	.protected	bluestein_single_fwd_len84_dim1_half_op_CI_CI ; -- Begin function bluestein_single_fwd_len84_dim1_half_op_CI_CI
	.globl	bluestein_single_fwd_len84_dim1_half_op_CI_CI
	.p2align	8
	.type	bluestein_single_fwd_len84_dim1_half_op_CI_CI,@function
bluestein_single_fwd_len84_dim1_half_op_CI_CI: ; @bluestein_single_fwd_len84_dim1_half_op_CI_CI
; %bb.0:
	v_mul_u32_u24_e32 v1, 0x1556, v0
	s_load_dwordx4 s[16:19], s[4:5], 0x28
	v_lshrrev_b32_e32 v1, 16, v1
	v_mad_u64_u32 v[8:9], s[0:1], s6, 10, v[1:2]
	v_mov_b32_e32 v9, 0
	s_waitcnt lgkmcnt(0)
	v_cmp_gt_u64_e32 vcc, s[16:17], v[8:9]
	s_and_saveexec_b64 s[0:1], vcc
	s_cbranch_execz .LBB0_18
; %bb.1:
	s_load_dwordx4 s[0:3], s[4:5], 0x18
	s_load_dwordx4 s[12:15], s[4:5], 0x0
	v_mul_lo_u16_e32 v1, 12, v1
	v_sub_u16_e32 v28, v0, v1
	v_or_b32_e32 v23, 48, v28
	s_waitcnt lgkmcnt(0)
	s_load_dwordx4 s[8:11], s[0:1], 0x0
	v_lshlrev_b32_e32 v9, 2, v28
	s_load_dwordx2 s[4:5], s[4:5], 0x38
	s_waitcnt lgkmcnt(0)
	v_mad_u64_u32 v[0:1], s[0:1], s10, v8, 0
	v_mad_u64_u32 v[2:3], s[0:1], s8, v28, 0
	s_mul_i32 s7, s8, 48
	v_mad_u64_u32 v[4:5], s[0:1], s11, v8, v[1:2]
	v_mad_u64_u32 v[5:6], s[0:1], s9, v28, v[3:4]
	v_mov_b32_e32 v1, v4
	v_lshlrev_b64 v[0:1], 2, v[0:1]
	v_mov_b32_e32 v6, s19
	v_mov_b32_e32 v3, v5
	v_add_co_u32_e32 v7, vcc, s18, v0
	v_addc_co_u32_e32 v6, vcc, v6, v1, vcc
	v_lshlrev_b64 v[0:1], 2, v[2:3]
	s_mul_i32 s0, s9, 48
	v_add_co_u32_e32 v0, vcc, v7, v0
	s_mul_hi_u32 s1, s8, 48
	v_addc_co_u32_e32 v1, vcc, v6, v1, vcc
	s_add_i32 s6, s1, s0
	global_load_dword v10, v[0:1], off
	v_mov_b32_e32 v2, s6
	v_add_co_u32_e32 v0, vcc, s7, v0
	v_addc_co_u32_e32 v1, vcc, v1, v2, vcc
	v_mov_b32_e32 v3, s6
	v_add_co_u32_e32 v2, vcc, s7, v0
	v_addc_co_u32_e32 v3, vcc, v1, v3, vcc
	global_load_dword v11, v[0:1], off
	global_load_dword v12, v[2:3], off
	global_load_dword v30, v9, s[12:13]
	v_mad_u64_u32 v[0:1], s[0:1], s8, v23, 0
	global_load_dword v29, v9, s[12:13] offset:48
	global_load_dword v27, v9, s[12:13] offset:96
	v_mov_b32_e32 v13, s6
	v_mad_u64_u32 v[4:5], s[0:1], s9, v23, v[1:2]
	v_add_co_u32_e32 v2, vcc, s7, v2
	v_mov_b32_e32 v1, v4
	v_addc_co_u32_e32 v3, vcc, v3, v13, vcc
	v_lshlrev_b64 v[0:1], 2, v[0:1]
	global_load_dword v5, v[2:3], off
	global_load_dword v26, v9, s[12:13] offset:144
	v_add_co_u32_e32 v0, vcc, v7, v0
	v_addc_co_u32_e32 v1, vcc, v6, v1, vcc
	global_load_dword v4, v[0:1], off
	v_mov_b32_e32 v0, 0x60
	v_mad_u64_u32 v[0:1], s[0:1], s8, v0, v[2:3]
	global_load_dword v25, v9, s[12:13] offset:192
	s_mul_i32 s0, s9, 0x60
	v_add_u32_e32 v1, s0, v1
	global_load_dword v2, v[0:1], off
	global_load_dword v22, v9, s[12:13] offset:240
	v_mov_b32_e32 v3, s6
	v_add_co_u32_e32 v0, vcc, s7, v0
	v_addc_co_u32_e32 v1, vcc, v1, v3, vcc
	global_load_dword v3, v[0:1], off
	global_load_dword v21, v9, s[12:13] offset:288
	s_mov_b32 s0, 0xcccccccd
	v_mul_hi_u32 v0, v8, s0
	s_load_dwordx4 s[8:11], s[2:3], 0x0
	s_movk_i32 s0, 0x3a52
	s_movk_i32 s1, 0x3b00
	v_lshrrev_b32_e32 v0, 3, v0
	v_mul_lo_u32 v0, v0, 10
	s_mov_b32 s2, 0xb846
	s_mov_b32 s3, 0xffff
	v_cmp_gt_u16_e32 vcc, 6, v28
	v_sub_u32_e32 v0, v8, v0
	v_mul_u32_u24_e32 v0, 0x54, v0
	v_lshlrev_b32_e32 v19, 2, v0
	v_add_u32_e32 v24, v9, v19
	s_waitcnt vmcnt(13)
	v_lshrrev_b32_e32 v0, 16, v10
	s_waitcnt vmcnt(10)
	v_mul_f16_sdwa v1, v30, v10 dst_sel:DWORD dst_unused:UNUSED_PAD src0_sel:WORD_1 src1_sel:DWORD
	v_mul_f16_sdwa v6, v30, v0 dst_sel:DWORD dst_unused:UNUSED_PAD src0_sel:WORD_1 src1_sel:DWORD
	v_fma_f16 v0, v30, v0, -v1
	v_lshrrev_b32_e32 v1, 16, v11
	s_waitcnt vmcnt(9)
	v_mul_f16_sdwa v7, v29, v11 dst_sel:DWORD dst_unused:UNUSED_PAD src0_sel:WORD_1 src1_sel:DWORD
	v_fma_f16 v6, v30, v10, v6
	v_mul_f16_sdwa v10, v29, v1 dst_sel:DWORD dst_unused:UNUSED_PAD src0_sel:WORD_1 src1_sel:DWORD
	v_fma_f16 v1, v29, v1, -v7
	v_lshrrev_b32_e32 v7, 16, v12
	v_pack_b32_f16 v0, v6, v0
	v_fma_f16 v6, v29, v11, v10
	s_waitcnt vmcnt(8)
	v_mul_f16_sdwa v13, v27, v12 dst_sel:DWORD dst_unused:UNUSED_PAD src0_sel:WORD_1 src1_sel:DWORD
	v_mul_f16_sdwa v10, v27, v7 dst_sel:DWORD dst_unused:UNUSED_PAD src0_sel:WORD_1 src1_sel:DWORD
	v_pack_b32_f16 v1, v6, v1
	v_fma_f16 v6, v27, v12, v10
	ds_write2_b32 v24, v0, v1 offset1:12
	v_fma_f16 v0, v27, v7, -v13
	s_waitcnt vmcnt(7)
	v_lshrrev_b32_e32 v1, 16, v5
	v_pack_b32_f16 v0, v6, v0
	s_waitcnt vmcnt(6)
	v_mul_f16_sdwa v6, v26, v1 dst_sel:DWORD dst_unused:UNUSED_PAD src0_sel:WORD_1 src1_sel:DWORD
	v_fma_f16 v6, v26, v5, v6
	v_mul_f16_sdwa v5, v26, v5 dst_sel:DWORD dst_unused:UNUSED_PAD src0_sel:WORD_1 src1_sel:DWORD
	v_fma_f16 v1, v26, v1, -v5
	v_pack_b32_f16 v1, v6, v1
	ds_write2_b32 v24, v0, v1 offset0:24 offset1:36
	s_waitcnt vmcnt(5)
	v_lshrrev_b32_e32 v0, 16, v4
	s_waitcnt vmcnt(4)
	v_mul_f16_sdwa v1, v25, v0 dst_sel:DWORD dst_unused:UNUSED_PAD src0_sel:WORD_1 src1_sel:DWORD
	v_fma_f16 v1, v25, v4, v1
	v_mul_f16_sdwa v4, v25, v4 dst_sel:DWORD dst_unused:UNUSED_PAD src0_sel:WORD_1 src1_sel:DWORD
	v_fma_f16 v0, v25, v0, -v4
	v_pack_b32_f16 v0, v1, v0
	s_waitcnt vmcnt(3)
	v_lshrrev_b32_e32 v1, 16, v2
	s_waitcnt vmcnt(2)
	v_mul_f16_sdwa v4, v22, v1 dst_sel:DWORD dst_unused:UNUSED_PAD src0_sel:WORD_1 src1_sel:DWORD
	v_fma_f16 v4, v22, v2, v4
	v_mul_f16_sdwa v2, v22, v2 dst_sel:DWORD dst_unused:UNUSED_PAD src0_sel:WORD_1 src1_sel:DWORD
	v_fma_f16 v1, v22, v1, -v2
	v_pack_b32_f16 v1, v4, v1
	ds_write2_b32 v24, v0, v1 offset0:48 offset1:60
	s_waitcnt vmcnt(1)
	v_lshrrev_b32_e32 v0, 16, v3
	s_waitcnt vmcnt(0)
	v_mul_f16_sdwa v1, v21, v0 dst_sel:DWORD dst_unused:UNUSED_PAD src0_sel:WORD_1 src1_sel:DWORD
	v_mul_f16_sdwa v2, v21, v3 dst_sel:DWORD dst_unused:UNUSED_PAD src0_sel:WORD_1 src1_sel:DWORD
	v_fma_f16 v1, v21, v3, v1
	v_fma_f16 v0, v21, v0, -v2
	v_pack_b32_f16 v0, v1, v0
	ds_write_b32 v24, v0 offset:288
	s_waitcnt lgkmcnt(0)
	s_barrier
	ds_read2_b32 v[0:1], v24 offset1:12
	ds_read2_b32 v[2:3], v24 offset0:24 offset1:36
	ds_read_b32 v6, v24 offset:288
	ds_read2_b32 v[4:5], v24 offset0:48 offset1:60
	s_waitcnt lgkmcnt(0)
	s_barrier
	v_pk_add_f16 v7, v1, v6
	v_pk_add_f16 v10, v2, v5
	;; [unrolled: 1-line block ×6, first 2 shown]
	v_pk_add_f16 v0, v1, v6 neg_lo:[0,1] neg_hi:[0,1]
	v_pk_add_f16 v1, v2, v5 neg_lo:[0,1] neg_hi:[0,1]
	;; [unrolled: 1-line block ×5, first 2 shown]
	v_pk_add_f16 v5, v2, v1
	v_pk_add_f16 v7, v1, v0 neg_lo:[0,1] neg_hi:[0,1]
	v_pk_mul_f16 v4, v4, s0 op_sel_hi:[1,0]
	s_movk_i32 s0, 0x39e0
	v_pk_add_f16 v6, v0, v2 neg_lo:[0,1] neg_hi:[0,1]
	v_pk_add_f16 v0, v5, v0
	v_pk_mul_f16 v3, v3, s0 op_sel_hi:[1,0]
	s_movk_i32 s0, 0x3574
	v_pk_mul_f16 v5, v7, s1 op_sel_hi:[1,0]
	s_mov_b32 s1, 0xbcab
	v_pk_fma_f16 v14, v6, s0, v5 op_sel_hi:[1,0,1] neg_lo:[1,0,1] neg_hi:[1,0,1]
	v_pk_mul_f16 v6, v6, s0 op_sel_hi:[1,0]
	v_pk_add_f16 v10, v11, v10 neg_lo:[0,1] neg_hi:[0,1]
	v_pk_add_f16 v1, v2, v1 neg_lo:[0,1] neg_hi:[0,1]
	s_movk_i32 s0, 0x2b26
	v_pk_fma_f16 v7, v12, s1, v13 op_sel_hi:[1,0,1]
	v_pk_add_f16 v12, v4, v3 op_sel:[1,1] op_sel_hi:[0,0] neg_lo:[1,1] neg_hi:[1,1]
	s_movk_i32 s1, 0x370e
	v_pk_fma_f16 v2, v10, s0, v3 op_sel_hi:[1,0,1] neg_lo:[1,0,0] neg_hi:[1,0,0]
	v_pk_fma_f16 v3, v1, s2, v5 op_sel_hi:[1,0,1] neg_lo:[1,0,0] neg_hi:[1,0,0]
	v_pk_add_f16 v12, v12, v7 op_sel:[0,1] op_sel_hi:[1,0]
	v_pk_fma_f16 v14, v0, s1, v14 op_sel_hi:[1,0,1]
	v_pk_add_f16 v2, v2, v7
	v_pk_fma_f16 v3, v0, s1, v3 op_sel_hi:[1,0,1]
	v_pk_add_f16 v15, v12, v14
	v_pk_add_f16 v12, v12, v14 neg_lo:[0,1] neg_hi:[0,1]
	v_mul_lo_u16_e32 v14, 7, v28
	v_pk_add_f16 v5, v2, v3 op_sel:[0,1] op_sel_hi:[1,0] neg_lo:[0,1] neg_hi:[0,1]
	v_pk_add_f16 v2, v2, v3 op_sel:[0,1] op_sel_hi:[1,0]
	v_lshl_add_u32 v20, v14, 2, v19
	v_alignbit_b32 v11, v12, v15, 16
	v_bfi_b32 v3, s3, v5, v2
	ds_write2_b32 v20, v11, v3 offset0:2 offset1:3
	v_bfi_b32 v2, s3, v2, v5
	v_alignbit_b32 v3, v15, v12, 16
	ds_write2_b32 v20, v2, v3 offset0:4 offset1:5
	v_pk_fma_f16 v2, v10, s0, v4 op_sel_hi:[1,0,1]
	v_pk_fma_f16 v1, v1, s2, v6 op_sel_hi:[1,0,1]
	v_pk_add_f16 v2, v2, v7
	v_pk_fma_f16 v0, v0, s1, v1 op_sel_hi:[1,0,1]
	v_pk_add_f16 v1, v2, v0 op_sel:[0,1] op_sel_hi:[1,0]
	v_pk_add_f16 v0, v2, v0 op_sel:[0,1] op_sel_hi:[1,0] neg_lo:[0,1] neg_hi:[0,1]
	v_bfi_b32 v2, s3, v0, v1
	v_bfi_b32 v3, s3, v1, v0
	ds_write2_b32 v20, v13, v3 offset1:1
	ds_write_b32 v20, v2 offset:24
	s_waitcnt lgkmcnt(0)
	s_barrier
	ds_read2_b32 v[4:5], v24 offset1:12
	ds_read2_b32 v[2:3], v24 offset0:24 offset1:42
	ds_read2_b32 v[6:7], v24 offset0:54 offset1:66
	v_lshrrev_b32_e32 v10, 16, v1
                                        ; implicit-def: $vgpr11
	s_and_saveexec_b64 s[0:1], vcc
	s_cbranch_execz .LBB0_3
; %bb.2:
	ds_read2_b32 v[0:1], v24 offset0:36 offset1:78
	s_waitcnt lgkmcnt(0)
	v_lshrrev_b32_e32 v10, 16, v0
	v_lshrrev_b32_e32 v11, 16, v1
.LBB0_3:
	s_or_b64 exec, exec, s[0:1]
	v_add_co_u32_e64 v38, s[0:1], 12, v28
	v_add_co_u32_e64 v12, s[0:1], -7, v28
	v_addc_co_u32_e64 v13, s[0:1], 0, -1, s[0:1]
	v_cmp_gt_u16_e64 s[0:1], 7, v28
	v_cndmask_b32_e64 v13, v13, 0, s[0:1]
	v_cndmask_b32_e64 v12, v12, v28, s[0:1]
	v_lshlrev_b64 v[13:14], 2, v[12:13]
	v_mov_b32_e32 v15, s15
	v_add_co_u32_e64 v13, s[0:1], s14, v13
	v_addc_co_u32_e64 v14, s[0:1], v15, v14, s[0:1]
	v_mov_b32_e32 v15, 37
	v_add_u16_e32 v33, 24, v28
	v_mul_lo_u16_sdwa v16, v38, v15 dst_sel:DWORD dst_unused:UNUSED_PAD src0_sel:BYTE_0 src1_sel:DWORD
	v_mul_lo_u16_sdwa v34, v33, v15 dst_sel:DWORD dst_unused:UNUSED_PAD src0_sel:BYTE_0 src1_sel:DWORD
	v_sub_u16_sdwa v17, v38, v16 dst_sel:DWORD dst_unused:UNUSED_PAD src0_sel:DWORD src1_sel:BYTE_1
	v_sub_u16_sdwa v32, v33, v34 dst_sel:DWORD dst_unused:UNUSED_PAD src0_sel:DWORD src1_sel:BYTE_1
	v_lshrrev_b16_e32 v17, 1, v17
	v_lshrrev_b16_e32 v32, 1, v32
	v_and_b32_e32 v17, 0x7f, v17
	v_and_b32_e32 v35, 0x7f, v32
	v_add_u16_sdwa v16, v17, v16 dst_sel:DWORD dst_unused:UNUSED_PAD src0_sel:DWORD src1_sel:BYTE_1
	global_load_dword v32, v[13:14], off
	v_add_u16_sdwa v13, v35, v34 dst_sel:DWORD dst_unused:UNUSED_PAD src0_sel:DWORD src1_sel:BYTE_1
	v_lshrrev_b16_e32 v16, 2, v16
	v_lshrrev_b16_e32 v14, 2, v13
	v_mul_lo_u16_e32 v17, 7, v16
	v_mul_lo_u16_e32 v13, 7, v14
	v_sub_u16_e32 v17, v38, v17
	v_mov_b32_e32 v18, 2
	v_sub_u16_e32 v40, v33, v13
	v_lshlrev_b32_sdwa v31, v18, v17 dst_sel:DWORD dst_unused:UNUSED_PAD src0_sel:DWORD src1_sel:BYTE_0
	v_lshlrev_b32_sdwa v13, v18, v40 dst_sel:DWORD dst_unused:UNUSED_PAD src0_sel:DWORD src1_sel:BYTE_0
	v_add_u16_e32 v18, 36, v28
	v_mul_lo_u16_sdwa v15, v18, v15 dst_sel:DWORD dst_unused:UNUSED_PAD src0_sel:BYTE_0 src1_sel:DWORD
	v_sub_u16_sdwa v33, v18, v15 dst_sel:DWORD dst_unused:UNUSED_PAD src0_sel:DWORD src1_sel:BYTE_1
	v_lshrrev_b16_e32 v33, 1, v33
	v_and_b32_e32 v35, 0x7f, v33
	global_load_dword v34, v31, s[14:15]
	global_load_dword v33, v13, s[14:15]
	v_add_u16_sdwa v13, v35, v15 dst_sel:DWORD dst_unused:UNUSED_PAD src0_sel:DWORD src1_sel:BYTE_1
	v_lshrrev_b16_e32 v13, 2, v13
	v_mul_lo_u16_e32 v13, 7, v13
	v_sub_u16_e32 v31, v18, v13
	v_and_b32_e32 v13, 0xff, v31
	v_lshlrev_b32_e32 v15, 2, v13
	global_load_dword v35, v15, s[14:15]
	v_cmp_lt_u16_e64 s[0:1], 6, v28
	v_cndmask_b32_e64 v36, 0, 14, s[0:1]
	s_waitcnt lgkmcnt(1)
	v_lshrrev_b32_e32 v37, 16, v3
	v_add_u32_e32 v12, v12, v36
	v_lshl_add_u32 v36, v12, 2, v19
	v_lshrrev_b32_e32 v18, 16, v4
	s_waitcnt lgkmcnt(0)
	v_lshrrev_b32_e32 v39, 16, v6
	v_lshrrev_b32_e32 v41, 16, v7
	s_waitcnt vmcnt(0)
	s_barrier
	v_lshrrev_b32_e32 v42, 16, v5
	v_lshrrev_b32_e32 v43, 16, v2
	v_mov_b32_e32 v15, s13
	v_mul_f16_sdwa v12, v3, v32 dst_sel:DWORD dst_unused:UNUSED_PAD src0_sel:DWORD src1_sel:WORD_1
	v_mul_f16_sdwa v44, v37, v32 dst_sel:DWORD dst_unused:UNUSED_PAD src0_sel:DWORD src1_sel:WORD_1
	v_fma_f16 v12, v37, v32, v12
	v_fma_f16 v3, v3, v32, -v44
	v_sub_f16_e32 v3, v4, v3
	v_sub_f16_e32 v12, v18, v12
	v_fma_f16 v18, v18, 2.0, -v12
	v_pack_b32_f16 v12, v3, v12
	v_fma_f16 v3, v4, 2.0, -v3
	v_pack_b32_f16 v3, v3, v18
	ds_write2_b32 v36, v3, v12 offset1:7
	v_mul_f16_sdwa v3, v39, v34 dst_sel:DWORD dst_unused:UNUSED_PAD src0_sel:DWORD src1_sel:WORD_1
	v_mul_f16_sdwa v4, v41, v33 dst_sel:DWORD dst_unused:UNUSED_PAD src0_sel:DWORD src1_sel:WORD_1
	;; [unrolled: 1-line block ×4, first 2 shown]
	v_fma_f16 v3, v6, v34, -v3
	v_fma_f16 v4, v7, v33, -v4
	v_fma_f16 v6, v39, v34, v12
	v_fma_f16 v7, v41, v33, v18
	v_mul_f16_sdwa v12, v11, v35 dst_sel:DWORD dst_unused:UNUSED_PAD src0_sel:DWORD src1_sel:WORD_1
	v_mul_f16_sdwa v18, v1, v35 dst_sel:DWORD dst_unused:UNUSED_PAD src0_sel:DWORD src1_sel:WORD_1
	v_fma_f16 v1, v1, v35, -v12
	v_fma_f16 v18, v11, v35, v18
	v_sub_f16_e32 v3, v5, v3
	v_sub_f16_e32 v6, v42, v6
	;; [unrolled: 1-line block ×3, first 2 shown]
	v_fma_f16 v1, v5, 2.0, -v3
	v_fma_f16 v5, v42, 2.0, -v6
	v_sub_f16_e32 v42, v10, v18
	v_fma_f16 v37, v10, 2.0, -v42
	v_mad_legacy_u16 v10, v16, 14, v17
	v_and_b32_e32 v10, 0xff, v10
	v_lshl_add_u32 v39, v10, 2, v19
	v_pack_b32_f16 v1, v1, v5
	v_pack_b32_f16 v3, v3, v6
	v_sub_f16_e32 v4, v2, v4
	v_fma_f16 v11, v0, 2.0, -v12
	v_sub_f16_e32 v0, v43, v7
	ds_write2_b32 v39, v1, v3 offset1:7
	v_mad_legacy_u16 v1, v14, 14, v40
	v_fma_f16 v2, v2, 2.0, -v4
	v_fma_f16 v7, v43, 2.0, -v0
	v_and_b32_e32 v1, 0xff, v1
	v_lshl_add_u32 v41, v1, 2, v19
	v_pack_b32_f16 v1, v2, v7
	v_pack_b32_f16 v0, v4, v0
	ds_write2_b32 v41, v1, v0 offset1:7
	s_and_saveexec_b64 s[0:1], vcc
	s_cbranch_execz .LBB0_5
; %bb.4:
	s_mov_b32 s2, 0x5040100
	v_lshl_add_u32 v0, v13, 2, v19
	v_perm_b32 v1, v37, v11, s2
	v_perm_b32 v2, v42, v12, s2
	ds_write2_b32 v0, v1, v2 offset0:70 offset1:77
.LBB0_5:
	s_or_b64 exec, exec, s[0:1]
	s_waitcnt lgkmcnt(0)
	s_barrier
	ds_read2_b32 v[13:14], v24 offset1:14
	ds_read2_b32 v[6:7], v24 offset0:28 offset1:42
	ds_read2_b32 v[4:5], v24 offset0:56 offset1:70
	v_add_co_u32_e64 v9, s[0:1], s12, v9
	v_addc_co_u32_e64 v10, s[0:1], 0, v15, s[0:1]
	v_cmp_gt_u16_e64 s[0:1], 2, v28
                                        ; implicit-def: $vgpr15
                                        ; implicit-def: $vgpr44
                                        ; implicit-def: $vgpr45
                                        ; implicit-def: $vgpr17
                                        ; implicit-def: $vgpr46
                                        ; implicit-def: $vgpr43
	s_and_saveexec_b64 s[2:3], s[0:1]
	s_cbranch_execz .LBB0_7
; %bb.6:
	ds_read2_b32 v[11:12], v24 offset0:12 offset1:26
	ds_read2_b32 v[15:16], v24 offset0:40 offset1:54
	ds_read2_b32 v[17:18], v24 offset0:68 offset1:82
	s_waitcnt lgkmcnt(2)
	v_lshrrev_b32_e32 v37, 16, v11
	v_lshrrev_b32_e32 v42, 16, v12
	s_waitcnt lgkmcnt(1)
	v_lshrrev_b32_e32 v44, 16, v15
	v_lshrrev_b32_e32 v45, 16, v16
	;; [unrolled: 3-line block ×3, first 2 shown]
.LBB0_7:
	s_or_b64 exec, exec, s[2:3]
	v_mad_u64_u32 v[47:48], s[2:3], v28, 20, s[14:15]
	s_waitcnt lgkmcnt(1)
	v_lshrrev_b32_e32 v49, 16, v6
	v_lshrrev_b32_e32 v50, 16, v7
	global_load_dwordx4 v[0:3], v[47:48], off offset:28
	global_load_dword v40, v[47:48], off offset:44
	v_add_u32_e32 v47, -2, v28
	v_cndmask_b32_e64 v38, v47, v38, s[0:1]
	v_mul_hi_i32_i24_e32 v53, 20, v38
	v_mul_i32_i24_e32 v38, 20, v38
	v_mov_b32_e32 v48, s15
	v_add_co_u32_e64 v47, s[2:3], s14, v38
	s_waitcnt lgkmcnt(0)
	v_lshrrev_b32_e32 v51, 16, v4
	v_lshrrev_b32_e32 v52, 16, v5
	v_addc_co_u32_e64 v48, s[2:3], v48, v53, s[2:3]
	global_load_dword v38, v[47:48], off offset:44
	s_movk_i32 s2, 0x3aee
	s_mov_b32 s3, 0xbaee
	s_waitcnt vmcnt(2)
	v_mul_f16_sdwa v53, v49, v1 dst_sel:DWORD dst_unused:UNUSED_PAD src0_sel:DWORD src1_sel:WORD_1
	v_mul_f16_sdwa v55, v50, v2 dst_sel:DWORD dst_unused:UNUSED_PAD src0_sel:DWORD src1_sel:WORD_1
	;; [unrolled: 1-line block ×4, first 2 shown]
	v_fma_f16 v53, v6, v1, -v53
	v_fma_f16 v55, v7, v2, -v55
	v_mul_f16_sdwa v6, v51, v3 dst_sel:DWORD dst_unused:UNUSED_PAD src0_sel:DWORD src1_sel:WORD_1
	s_waitcnt vmcnt(1)
	v_mul_f16_sdwa v7, v52, v40 dst_sel:DWORD dst_unused:UNUSED_PAD src0_sel:DWORD src1_sel:WORD_1
	v_mul_f16_sdwa v57, v4, v3 dst_sel:DWORD dst_unused:UNUSED_PAD src0_sel:DWORD src1_sel:WORD_1
	v_fma_f16 v49, v49, v1, v54
	v_fma_f16 v50, v50, v2, v56
	v_mul_f16_sdwa v54, v5, v40 dst_sel:DWORD dst_unused:UNUSED_PAD src0_sel:DWORD src1_sel:WORD_1
	v_fma_f16 v56, v4, v3, -v6
	v_fma_f16 v58, v5, v40, -v7
	global_load_dwordx4 v[4:7], v[47:48], off offset:28
	v_fma_f16 v47, v51, v3, v57
	v_fma_f16 v48, v52, v40, v54
	s_waitcnt vmcnt(1)
	v_mul_f16_sdwa v57, v43, v38 dst_sel:DWORD dst_unused:UNUSED_PAD src0_sel:DWORD src1_sel:WORD_1
	v_fma_f16 v57, v18, v38, -v57
	v_mul_f16_sdwa v18, v18, v38 dst_sel:DWORD dst_unused:UNUSED_PAD src0_sel:DWORD src1_sel:WORD_1
	v_fma_f16 v18, v43, v38, v18
	v_lshrrev_b32_e32 v43, 16, v13
	s_waitcnt vmcnt(0)
	v_mul_f16_sdwa v51, v44, v5 dst_sel:DWORD dst_unused:UNUSED_PAD src0_sel:DWORD src1_sel:WORD_1
	v_mul_f16_sdwa v52, v45, v6 dst_sel:DWORD dst_unused:UNUSED_PAD src0_sel:DWORD src1_sel:WORD_1
	v_mul_f16_sdwa v54, v46, v7 dst_sel:DWORD dst_unused:UNUSED_PAD src0_sel:DWORD src1_sel:WORD_1
	v_fma_f16 v51, v15, v5, -v51
	v_fma_f16 v52, v16, v6, -v52
	v_mul_f16_sdwa v15, v15, v5 dst_sel:DWORD dst_unused:UNUSED_PAD src0_sel:DWORD src1_sel:WORD_1
	v_mul_f16_sdwa v16, v16, v6 dst_sel:DWORD dst_unused:UNUSED_PAD src0_sel:DWORD src1_sel:WORD_1
	v_fma_f16 v54, v17, v7, -v54
	v_mul_f16_sdwa v17, v17, v7 dst_sel:DWORD dst_unused:UNUSED_PAD src0_sel:DWORD src1_sel:WORD_1
	v_fma_f16 v44, v44, v5, v15
	v_fma_f16 v45, v45, v6, v16
	;; [unrolled: 1-line block ×3, first 2 shown]
	v_lshrrev_b32_e32 v15, 16, v14
	v_mul_f16_sdwa v17, v14, v0 dst_sel:DWORD dst_unused:UNUSED_PAD src0_sel:DWORD src1_sel:WORD_1
	v_fma_f16 v17, v15, v0, v17
	v_mul_f16_sdwa v15, v15, v0 dst_sel:DWORD dst_unused:UNUSED_PAD src0_sel:DWORD src1_sel:WORD_1
	v_fma_f16 v14, v14, v0, -v15
	v_add_f16_e32 v15, v53, v56
	v_fma_f16 v15, v15, -0.5, v13
	v_add_f16_e32 v13, v13, v53
	v_sub_f16_e32 v46, v53, v56
	v_add_f16_e32 v13, v13, v56
	v_sub_f16_e32 v53, v49, v47
	v_add_f16_e32 v56, v43, v49
	v_add_f16_e32 v49, v49, v47
	;; [unrolled: 1-line block ×3, first 2 shown]
	v_fma_f16 v43, v49, -0.5, v43
	v_add_f16_e32 v49, v14, v55
	v_add_f16_e32 v56, v55, v58
	v_sub_f16_e32 v55, v55, v58
	v_add_f16_e32 v49, v49, v58
	v_fma_f16 v14, v56, -0.5, v14
	v_sub_f16_e32 v56, v50, v48
	v_add_f16_e32 v58, v17, v50
	v_add_f16_e32 v50, v50, v48
	v_fma_f16 v17, v50, -0.5, v17
	v_fma_f16 v50, v53, s2, v15
	v_fma_f16 v15, v53, s3, v15
	;; [unrolled: 1-line block ×8, first 2 shown]
	v_mul_f16_e32 v55, 0x3aee, v56
	v_fma_f16 v55, v46, 0.5, v55
	v_mul_f16_e32 v46, 0xbaee, v46
	v_fma_f16 v46, v56, 0.5, v46
	v_mul_f16_e32 v56, -0.5, v14
	v_fma_f16 v56, v17, s2, v56
	v_mul_f16_e32 v17, -0.5, v17
	v_fma_f16 v14, v14, s3, v17
	v_add_f16_e32 v59, v50, v55
	v_sub_f16_e32 v50, v50, v55
	v_add_f16_e32 v55, v15, v56
	v_sub_f16_e32 v56, v15, v56
	v_mul_f16_sdwa v15, v42, v4 dst_sel:DWORD dst_unused:UNUSED_PAD src0_sel:DWORD src1_sel:WORD_1
	v_add_f16_e32 v61, v43, v14
	v_sub_f16_e32 v62, v43, v14
	v_mul_f16_sdwa v14, v12, v4 dst_sel:DWORD dst_unused:UNUSED_PAD src0_sel:DWORD src1_sel:WORD_1
	v_fma_f16 v12, v12, v4, -v15
	v_add_f16_e32 v15, v51, v54
	v_fma_f16 v15, v15, -0.5, v11
	v_sub_f16_e32 v17, v44, v16
	v_fma_f16 v43, v17, s2, v15
	v_fma_f16 v63, v17, s3, v15
	v_add_f16_e32 v15, v37, v44
	v_add_f16_e32 v11, v11, v51
	;; [unrolled: 1-line block ×4, first 2 shown]
	v_fma_f16 v17, v16, -0.5, v37
	v_add_f16_e32 v16, v11, v54
	v_sub_f16_e32 v11, v51, v54
	v_fma_f16 v37, v11, s3, v17
	v_fma_f16 v11, v11, s2, v17
	v_add_f16_e32 v17, v52, v57
	v_fma_f16 v14, v42, v4, v14
	v_fma_f16 v17, v17, -0.5, v12
	v_sub_f16_e32 v42, v45, v18
	v_fma_f16 v44, v42, s2, v17
	v_fma_f16 v42, v42, s3, v17
	v_add_f16_e32 v17, v14, v45
	v_add_f16_e32 v17, v17, v18
	;; [unrolled: 1-line block ×4, first 2 shown]
	v_fma_f16 v14, v18, -0.5, v14
	v_add_f16_e32 v18, v12, v57
	v_sub_f16_e32 v12, v52, v57
	v_fma_f16 v45, v12, s3, v14
	v_fma_f16 v12, v12, s2, v14
	v_mul_f16_e32 v14, 0x3aee, v45
	v_add_f16_e32 v48, v58, v48
	v_fma_f16 v14, v44, 0.5, v14
	v_mul_f16_e32 v44, 0xbaee, v44
	v_add_f16_e32 v58, v13, v49
	v_sub_f16_e32 v49, v13, v49
	v_add_f16_e32 v13, v47, v48
	v_fma_f16 v44, v45, 0.5, v44
	v_mul_f16_e32 v45, -0.5, v42
	v_sub_f16_e32 v48, v47, v48
	v_add_f16_e32 v60, v53, v46
	v_sub_f16_e32 v53, v53, v46
	v_fma_f16 v51, v12, s2, v45
	v_mul_f16_e32 v12, -0.5, v12
	v_add_f16_e32 v46, v37, v44
	v_sub_f16_e32 v45, v37, v44
	v_pack_b32_f16 v37, v58, v13
	v_fma_f16 v12, v42, s3, v12
	ds_write_b32 v24, v37
	v_lshl_add_u32 v37, v28, 2, v19
	v_pack_b32_f16 v48, v49, v48
	v_pack_b32_f16 v49, v50, v53
	v_add_f16_e32 v44, v11, v12
	v_sub_f16_e32 v42, v11, v12
	v_add_f16_e32 v47, v43, v14
	v_sub_f16_e32 v13, v43, v14
	v_sub_f16_e32 v14, v63, v51
	v_add_f16_e32 v11, v63, v51
	v_sub_f16_e32 v12, v16, v18
	v_sub_f16_e32 v43, v15, v17
	v_pack_b32_f16 v51, v59, v60
	v_pack_b32_f16 v52, v55, v61
	ds_write2_b32 v37, v48, v49 offset0:42 offset1:56
	v_pack_b32_f16 v48, v56, v62
	ds_write2_b32 v37, v51, v52 offset0:14 offset1:28
	ds_write_b32 v37, v48 offset:280
	s_and_saveexec_b64 s[2:3], s[0:1]
	s_cbranch_execz .LBB0_9
; %bb.8:
	v_add_f16_e32 v15, v15, v17
	v_add_f16_e32 v16, v16, v18
	v_pack_b32_f16 v15, v16, v15
	s_mov_b32 s6, 0x5040100
	ds_write_b32 v24, v15 offset:48
	v_perm_b32 v15, v46, v47, s6
	v_perm_b32 v16, v44, v11, s6
	ds_write2_b32 v37, v15, v16 offset0:26 offset1:40
	v_perm_b32 v15, v43, v12, s6
	v_perm_b32 v16, v45, v13, s6
	ds_write2_b32 v37, v15, v16 offset0:54 offset1:68
	v_perm_b32 v15, v42, v14, s6
	ds_write_b32 v37, v15 offset:328
.LBB0_9:
	s_or_b64 exec, exec, s[2:3]
	s_waitcnt lgkmcnt(0)
	s_barrier
	global_load_dword v9, v[9:10], off offset:336
	ds_read2_b32 v[15:16], v24 offset1:12
	s_add_u32 s2, s12, 0x150
	s_addc_u32 s3, s13, 0
	s_movk_i32 s6, 0x3846
	s_mov_b32 s7, 0xffff
	s_waitcnt lgkmcnt(0)
	v_lshrrev_b32_e32 v17, 16, v15
	s_waitcnt vmcnt(0)
	v_mul_f16_sdwa v10, v17, v9 dst_sel:DWORD dst_unused:UNUSED_PAD src0_sel:DWORD src1_sel:WORD_1
	v_fma_f16 v10, v15, v9, -v10
	v_mul_f16_sdwa v15, v15, v9 dst_sel:DWORD dst_unused:UNUSED_PAD src0_sel:DWORD src1_sel:WORD_1
	v_fma_f16 v9, v17, v9, v15
	v_lshlrev_b32_e32 v15, 2, v28
	global_load_dword v17, v15, s[2:3] offset:48
	v_pack_b32_f16 v9, v10, v9
	v_lshrrev_b32_e32 v10, 16, v16
	s_waitcnt vmcnt(0)
	v_mul_f16_sdwa v18, v10, v17 dst_sel:DWORD dst_unused:UNUSED_PAD src0_sel:DWORD src1_sel:WORD_1
	v_fma_f16 v18, v16, v17, -v18
	v_mul_f16_sdwa v16, v16, v17 dst_sel:DWORD dst_unused:UNUSED_PAD src0_sel:DWORD src1_sel:WORD_1
	v_fma_f16 v10, v10, v17, v16
	global_load_dword v17, v15, s[2:3] offset:96
	v_pack_b32_f16 v10, v18, v10
	ds_write2_b32 v24, v9, v10 offset1:12
	ds_read2_b32 v[9:10], v24 offset0:24 offset1:48
	s_waitcnt lgkmcnt(0)
	v_lshrrev_b32_e32 v16, 16, v9
	s_waitcnt vmcnt(0)
	v_mul_f16_sdwa v18, v16, v17 dst_sel:DWORD dst_unused:UNUSED_PAD src0_sel:DWORD src1_sel:WORD_1
	v_fma_f16 v18, v9, v17, -v18
	v_mul_f16_sdwa v9, v9, v17 dst_sel:DWORD dst_unused:UNUSED_PAD src0_sel:DWORD src1_sel:WORD_1
	v_fma_f16 v9, v16, v17, v9
	v_pack_b32_f16 v9, v18, v9
	global_load_dword v18, v15, s[2:3] offset:144
	ds_read_b32 v16, v37 offset:144
	s_waitcnt lgkmcnt(0)
	v_lshrrev_b32_e32 v17, 16, v16
	s_waitcnt vmcnt(0)
	v_mul_f16_sdwa v48, v17, v18 dst_sel:DWORD dst_unused:UNUSED_PAD src0_sel:DWORD src1_sel:WORD_1
	v_fma_f16 v48, v16, v18, -v48
	v_mul_f16_sdwa v16, v16, v18 dst_sel:DWORD dst_unused:UNUSED_PAD src0_sel:DWORD src1_sel:WORD_1
	v_fma_f16 v16, v17, v18, v16
	global_load_dword v17, v15, s[2:3] offset:192
	v_pack_b32_f16 v16, v48, v16
	ds_write_b32 v37, v16 offset:144
	v_lshrrev_b32_e32 v16, 16, v10
	s_waitcnt vmcnt(0)
	v_mul_f16_sdwa v18, v16, v17 dst_sel:DWORD dst_unused:UNUSED_PAD src0_sel:DWORD src1_sel:WORD_1
	v_fma_f16 v18, v10, v17, -v18
	v_mul_f16_sdwa v10, v10, v17 dst_sel:DWORD dst_unused:UNUSED_PAD src0_sel:DWORD src1_sel:WORD_1
	v_fma_f16 v10, v16, v17, v10
	global_load_dword v17, v15, s[2:3] offset:240
	v_pack_b32_f16 v10, v18, v10
	global_load_dword v15, v15, s[2:3] offset:288
	ds_write2_b32 v24, v9, v10 offset0:24 offset1:48
	ds_read2_b32 v[9:10], v24 offset0:60 offset1:72
	s_movk_i32 s2, 0x3a52
	s_mov_b32 s3, 0xbb00
	s_waitcnt lgkmcnt(0)
	v_lshrrev_b32_e32 v16, 16, v9
	s_waitcnt vmcnt(1)
	v_mul_f16_sdwa v18, v16, v17 dst_sel:DWORD dst_unused:UNUSED_PAD src0_sel:DWORD src1_sel:WORD_1
	v_fma_f16 v18, v9, v17, -v18
	v_mul_f16_sdwa v9, v9, v17 dst_sel:DWORD dst_unused:UNUSED_PAD src0_sel:DWORD src1_sel:WORD_1
	v_fma_f16 v9, v16, v17, v9
	v_lshrrev_b32_e32 v16, 16, v10
	s_waitcnt vmcnt(0)
	v_mul_f16_sdwa v17, v16, v15 dst_sel:DWORD dst_unused:UNUSED_PAD src0_sel:DWORD src1_sel:WORD_1
	v_fma_f16 v17, v10, v15, -v17
	v_mul_f16_sdwa v10, v10, v15 dst_sel:DWORD dst_unused:UNUSED_PAD src0_sel:DWORD src1_sel:WORD_1
	v_fma_f16 v10, v16, v15, v10
	v_pack_b32_f16 v9, v18, v9
	v_pack_b32_f16 v10, v17, v10
	ds_write2_b32 v24, v9, v10 offset0:60 offset1:72
	s_waitcnt lgkmcnt(0)
	s_barrier
	ds_read2_b32 v[9:10], v24 offset1:12
	ds_read2_b32 v[15:16], v24 offset0:24 offset1:48
	ds_read_b32 v48, v37 offset:144
	ds_read2_b32 v[17:18], v24 offset0:60 offset1:72
	s_waitcnt lgkmcnt(0)
	s_barrier
	v_pk_add_f16 v51, v48, v16
	v_pk_add_f16 v49, v10, v18
	;; [unrolled: 1-line block ×4, first 2 shown]
	v_pk_add_f16 v10, v10, v18 neg_lo:[0,1] neg_hi:[0,1]
	v_pk_add_f16 v15, v15, v17 neg_lo:[0,1] neg_hi:[0,1]
	v_pk_add_f16 v52, v51, v52
	v_pk_add_f16 v18, v49, v51 neg_lo:[0,1] neg_hi:[0,1]
	v_pk_add_f16 v53, v15, v10 neg_lo:[0,1] neg_hi:[0,1]
	v_pk_add_f16 v9, v9, v52
	v_pk_add_f16 v16, v16, v48 neg_lo:[0,1] neg_hi:[0,1]
	v_pk_add_f16 v17, v50, v49 neg_lo:[0,1] neg_hi:[0,1]
	v_pk_mul_f16 v18, v18, s2 op_sel_hi:[1,0]
	s_movk_i32 s2, 0x39e0
	v_pk_mul_f16 v53, v53, s3 op_sel_hi:[1,0]
	s_mov_b32 s3, 0xbcab
	v_pk_add_f16 v48, v16, v15
	v_pk_add_f16 v49, v10, v16 neg_lo:[0,1] neg_hi:[0,1]
	v_pk_mul_f16 v17, v17, s2 op_sel_hi:[1,0]
	s_mov_b32 s2, 0xb574
	v_pk_fma_f16 v52, v52, s3, v9 op_sel_hi:[1,0,1]
	v_pk_add_f16 v50, v51, v50 neg_lo:[0,1] neg_hi:[0,1]
	v_pk_add_f16 v15, v16, v15 neg_lo:[0,1] neg_hi:[0,1]
	s_movk_i32 s3, 0x2b26
	v_pk_add_f16 v10, v48, v10
	v_pk_mul_f16 v48, v49, s2 op_sel_hi:[1,0]
	v_pk_add_f16 v54, v18, v17 op_sel:[1,1] op_sel_hi:[0,0] neg_lo:[1,1] neg_hi:[1,1]
	v_pk_fma_f16 v49, v49, s2, v53 op_sel_hi:[1,0,1] neg_lo:[1,0,1] neg_hi:[1,0,1]
	s_mov_b32 s2, 0xb70e
	v_pk_fma_f16 v16, v50, s3, v17 op_sel_hi:[1,0,1] neg_lo:[1,0,0] neg_hi:[1,0,0]
	v_pk_fma_f16 v17, v15, s6, v53 op_sel_hi:[1,0,1] neg_lo:[1,0,0] neg_hi:[1,0,0]
	v_pk_add_f16 v54, v54, v52 op_sel:[0,1] op_sel_hi:[1,0]
	v_pk_fma_f16 v49, v10, s2, v49 op_sel_hi:[1,0,1]
	v_pk_add_f16 v16, v16, v52
	v_pk_fma_f16 v17, v10, s2, v17 op_sel_hi:[1,0,1]
	v_pk_add_f16 v55, v54, v49
	v_pk_add_f16 v49, v54, v49 neg_lo:[0,1] neg_hi:[0,1]
	v_pk_add_f16 v51, v16, v17 op_sel:[0,1] op_sel_hi:[1,0] neg_lo:[0,1] neg_hi:[0,1]
	v_pk_add_f16 v16, v16, v17 op_sel:[0,1] op_sel_hi:[1,0]
	v_alignbit_b32 v54, v49, v55, 16
	v_bfi_b32 v17, s7, v51, v16
	ds_write2_b32 v20, v54, v17 offset0:2 offset1:3
	v_bfi_b32 v16, s7, v16, v51
	v_alignbit_b32 v17, v55, v49, 16
	ds_write2_b32 v20, v16, v17 offset0:4 offset1:5
	v_pk_fma_f16 v16, v50, s3, v18 op_sel_hi:[1,0,1]
	v_pk_fma_f16 v15, v15, s6, v48 op_sel_hi:[1,0,1]
	v_pk_add_f16 v16, v16, v52
	v_pk_fma_f16 v10, v10, s2, v15 op_sel_hi:[1,0,1]
	v_pk_add_f16 v49, v16, v10 op_sel:[0,1] op_sel_hi:[1,0]
	v_pk_add_f16 v48, v16, v10 op_sel:[0,1] op_sel_hi:[1,0] neg_lo:[0,1] neg_hi:[0,1]
	v_bfi_b32 v10, s7, v48, v49
	v_bfi_b32 v15, s7, v49, v48
	ds_write2_b32 v20, v9, v15 offset1:1
	ds_write_b32 v20, v10 offset:24
	s_waitcnt lgkmcnt(0)
	s_barrier
	ds_read2_b32 v[15:16], v24 offset1:12
	ds_read2_b32 v[9:10], v24 offset0:24 offset1:42
	ds_read2_b32 v[17:18], v24 offset0:54 offset1:66
	v_lshrrev_b32_e32 v20, 16, v49
	s_and_saveexec_b64 s[2:3], vcc
	s_cbranch_execz .LBB0_11
; %bb.10:
	ds_read_b32 v48, v37 offset:144
	ds_read_b32 v47, v24 offset:312
	s_waitcnt lgkmcnt(1)
	v_lshrrev_b32_e32 v20, 16, v48
	s_waitcnt lgkmcnt(0)
	v_lshrrev_b32_e32 v46, 16, v47
.LBB0_11:
	s_or_b64 exec, exec, s[2:3]
	s_waitcnt lgkmcnt(1)
	v_lshrrev_b32_e32 v50, 16, v10
	v_mul_f16_sdwa v55, v32, v50 dst_sel:DWORD dst_unused:UNUSED_PAD src0_sel:WORD_1 src1_sel:DWORD
	s_waitcnt lgkmcnt(0)
	v_lshrrev_b32_e32 v52, 16, v17
	v_fma_f16 v55, v32, v10, v55
	v_mul_f16_sdwa v10, v32, v10 dst_sel:DWORD dst_unused:UNUSED_PAD src0_sel:WORD_1 src1_sel:DWORD
	v_fma_f16 v10, v32, v50, -v10
	v_mul_f16_sdwa v32, v34, v52 dst_sel:DWORD dst_unused:UNUSED_PAD src0_sel:WORD_1 src1_sel:DWORD
	v_lshrrev_b32_e32 v54, 16, v18
	v_fma_f16 v32, v34, v17, v32
	v_mul_f16_sdwa v17, v34, v17 dst_sel:DWORD dst_unused:UNUSED_PAD src0_sel:WORD_1 src1_sel:DWORD
	v_fma_f16 v17, v34, v52, -v17
	v_mul_f16_sdwa v34, v33, v54 dst_sel:DWORD dst_unused:UNUSED_PAD src0_sel:WORD_1 src1_sel:DWORD
	v_fma_f16 v34, v33, v18, v34
	v_mul_f16_sdwa v18, v33, v18 dst_sel:DWORD dst_unused:UNUSED_PAD src0_sel:WORD_1 src1_sel:DWORD
	v_fma_f16 v18, v33, v54, -v18
	v_mul_f16_sdwa v33, v35, v46 dst_sel:DWORD dst_unused:UNUSED_PAD src0_sel:WORD_1 src1_sel:DWORD
	v_lshrrev_b32_e32 v49, 16, v15
	v_fma_f16 v33, v35, v47, v33
	v_mul_f16_sdwa v47, v35, v47 dst_sel:DWORD dst_unused:UNUSED_PAD src0_sel:WORD_1 src1_sel:DWORD
	v_lshrrev_b32_e32 v51, 16, v16
	v_fma_f16 v35, v35, v46, -v47
	v_sub_f16_e32 v46, v15, v55
	v_sub_f16_e32 v47, v49, v10
	v_lshrrev_b32_e32 v53, 16, v9
	v_fma_f16 v15, v15, 2.0, -v46
	v_fma_f16 v49, v49, 2.0, -v47
	v_sub_f16_e32 v50, v16, v32
	v_sub_f16_e32 v17, v51, v17
	;; [unrolled: 1-line block ×4, first 2 shown]
	v_fma_f16 v16, v16, 2.0, -v50
	v_fma_f16 v51, v51, 2.0, -v17
	v_sub_f16_e32 v34, v9, v34
	v_sub_f16_e32 v18, v53, v18
	v_fma_f16 v32, v20, 2.0, -v33
	v_pack_b32_f16 v15, v15, v49
	v_pack_b32_f16 v20, v46, v47
	v_fma_f16 v52, v9, 2.0, -v34
	v_fma_f16 v53, v53, 2.0, -v18
	s_barrier
	ds_write2_b32 v36, v15, v20 offset1:7
	v_pack_b32_f16 v15, v16, v51
	v_pack_b32_f16 v16, v50, v17
	v_fma_f16 v9, v48, 2.0, -v10
	ds_write2_b32 v39, v15, v16 offset1:7
	v_pack_b32_f16 v15, v52, v53
	v_pack_b32_f16 v16, v34, v18
	ds_write2_b32 v41, v15, v16 offset1:7
	s_and_saveexec_b64 s[2:3], vcc
	s_cbranch_execz .LBB0_13
; %bb.12:
	v_and_b32_e32 v15, 0xff, v31
	s_mov_b32 s6, 0x5040100
	v_lshl_add_u32 v15, v15, 2, v19
	v_perm_b32 v16, v32, v9, s6
	v_perm_b32 v17, v33, v10, s6
	ds_write2_b32 v15, v16, v17 offset0:70 offset1:77
.LBB0_13:
	s_or_b64 exec, exec, s[2:3]
	s_waitcnt lgkmcnt(0)
	s_barrier
	ds_read2_b32 v[15:16], v24 offset1:14
	ds_read2_b32 v[19:20], v24 offset0:28 offset1:42
	ds_read2_b32 v[17:18], v24 offset0:56 offset1:70
	s_and_saveexec_b64 s[2:3], s[0:1]
	s_cbranch_execz .LBB0_15
; %bb.14:
	ds_read2_b32 v[9:10], v24 offset0:12 offset1:26
	ds_read2_b32 v[11:12], v24 offset0:40 offset1:54
	;; [unrolled: 1-line block ×3, first 2 shown]
	s_waitcnt lgkmcnt(2)
	v_lshrrev_b32_e32 v32, 16, v9
	v_lshrrev_b32_e32 v33, 16, v10
	s_waitcnt lgkmcnt(1)
	v_lshrrev_b32_e32 v44, 16, v11
	v_lshrrev_b32_e32 v43, 16, v12
	;; [unrolled: 3-line block ×3, first 2 shown]
.LBB0_15:
	s_or_b64 exec, exec, s[2:3]
	s_waitcnt lgkmcnt(2)
	v_lshrrev_b32_e32 v34, 16, v16
	v_mul_f16_sdwa v46, v0, v34 dst_sel:DWORD dst_unused:UNUSED_PAD src0_sel:WORD_1 src1_sel:DWORD
	s_waitcnt lgkmcnt(1)
	v_lshrrev_b32_e32 v35, 16, v19
	v_fma_f16 v46, v0, v16, v46
	v_mul_f16_sdwa v16, v0, v16 dst_sel:DWORD dst_unused:UNUSED_PAD src0_sel:WORD_1 src1_sel:DWORD
	v_fma_f16 v0, v0, v34, -v16
	v_mul_f16_sdwa v16, v1, v35 dst_sel:DWORD dst_unused:UNUSED_PAD src0_sel:WORD_1 src1_sel:DWORD
	v_lshrrev_b32_e32 v36, 16, v20
	v_fma_f16 v16, v1, v19, v16
	v_mul_f16_sdwa v19, v1, v19 dst_sel:DWORD dst_unused:UNUSED_PAD src0_sel:WORD_1 src1_sel:DWORD
	v_fma_f16 v1, v1, v35, -v19
	v_mul_f16_sdwa v19, v2, v36 dst_sel:DWORD dst_unused:UNUSED_PAD src0_sel:WORD_1 src1_sel:DWORD
	s_waitcnt lgkmcnt(0)
	v_lshrrev_b32_e32 v39, 16, v17
	v_fma_f16 v19, v2, v20, v19
	v_mul_f16_sdwa v20, v2, v20 dst_sel:DWORD dst_unused:UNUSED_PAD src0_sel:WORD_1 src1_sel:DWORD
	v_fma_f16 v2, v2, v36, -v20
	v_mul_f16_sdwa v20, v3, v39 dst_sel:DWORD dst_unused:UNUSED_PAD src0_sel:WORD_1 src1_sel:DWORD
	v_fma_f16 v20, v3, v17, v20
	v_mul_f16_sdwa v17, v3, v17 dst_sel:DWORD dst_unused:UNUSED_PAD src0_sel:WORD_1 src1_sel:DWORD
	v_lshrrev_b32_e32 v41, 16, v18
	v_fma_f16 v3, v3, v39, -v17
	v_add_f16_e32 v35, v16, v20
	v_lshrrev_b32_e32 v31, 16, v15
	v_mul_f16_sdwa v17, v40, v41 dst_sel:DWORD dst_unused:UNUSED_PAD src0_sel:WORD_1 src1_sel:DWORD
	v_add_f16_e32 v34, v15, v16
	v_fma_f16 v15, v35, -0.5, v15
	v_sub_f16_e32 v35, v1, v3
	s_mov_b32 s6, 0xbaee
	s_movk_i32 s7, 0x3aee
	v_fma_f16 v17, v40, v18, v17
	v_mul_f16_sdwa v18, v40, v18 dst_sel:DWORD dst_unused:UNUSED_PAD src0_sel:WORD_1 src1_sel:DWORD
	v_fma_f16 v36, v35, s6, v15
	v_fma_f16 v15, v35, s7, v15
	v_add_f16_e32 v35, v31, v1
	v_fma_f16 v18, v40, v41, -v18
	v_add_f16_e32 v34, v34, v20
	v_add_f16_e32 v35, v35, v3
	;; [unrolled: 1-line block ×3, first 2 shown]
	v_sub_f16_e32 v3, v16, v20
	v_add_f16_e32 v20, v19, v17
	v_fma_f16 v1, v1, -0.5, v31
	v_fma_f16 v20, v20, -0.5, v46
	v_sub_f16_e32 v31, v2, v18
	v_fma_f16 v39, v31, s6, v20
	v_fma_f16 v20, v31, s7, v20
	v_add_f16_e32 v31, v0, v2
	v_add_f16_e32 v2, v2, v18
	v_fma_f16 v16, v3, s7, v1
	v_fma_f16 v1, v3, s6, v1
	v_add_f16_e32 v3, v46, v19
	v_fma_f16 v0, v2, -0.5, v0
	v_sub_f16_e32 v2, v19, v17
	v_add_f16_e32 v3, v3, v17
	v_fma_f16 v17, v2, s7, v0
	v_fma_f16 v0, v2, s6, v0
	v_add_f16_e32 v31, v31, v18
	v_mul_f16_e32 v18, 0xbaee, v17
	v_mul_f16_e32 v40, 0xbaee, v0
	v_mul_f16_e32 v17, 0.5, v17
	v_mul_f16_e32 v0, -0.5, v0
	v_add_f16_e32 v2, v34, v3
	v_fma_f16 v18, v39, 0.5, v18
	v_fma_f16 v40, v20, -0.5, v40
	v_add_f16_e32 v46, v35, v31
	v_fma_f16 v17, v39, s7, v17
	v_fma_f16 v0, v20, s7, v0
	v_add_f16_e32 v19, v36, v18
	v_add_f16_e32 v41, v15, v40
	;; [unrolled: 1-line block ×4, first 2 shown]
	v_sub_f16_e32 v0, v1, v0
	v_pack_b32_f16 v1, v2, v46
	v_sub_f16_e32 v3, v34, v3
	v_sub_f16_e32 v18, v36, v18
	;; [unrolled: 1-line block ×5, first 2 shown]
	ds_write_b32 v24, v1
	v_pack_b32_f16 v1, v19, v39
	v_pack_b32_f16 v2, v41, v20
	ds_write2_b32 v37, v1, v2 offset0:14 offset1:28
	v_pack_b32_f16 v1, v3, v31
	v_pack_b32_f16 v2, v18, v16
	;; [unrolled: 1-line block ×3, first 2 shown]
	ds_write2_b32 v37, v1, v2 offset0:42 offset1:56
	ds_write_b32 v37, v0 offset:280
	s_and_saveexec_b64 s[2:3], s[0:1]
	s_cbranch_execz .LBB0_17
; %bb.16:
	v_mul_f16_sdwa v0, v5, v11 dst_sel:DWORD dst_unused:UNUSED_PAD src0_sel:WORD_1 src1_sel:DWORD
	v_mul_f16_sdwa v3, v5, v44 dst_sel:DWORD dst_unused:UNUSED_PAD src0_sel:WORD_1 src1_sel:DWORD
	;; [unrolled: 1-line block ×3, first 2 shown]
	v_fma_f16 v0, v5, v44, -v0
	v_fma_f16 v3, v5, v11, v3
	v_mul_f16_sdwa v5, v7, v45 dst_sel:DWORD dst_unused:UNUSED_PAD src0_sel:WORD_1 src1_sel:DWORD
	v_fma_f16 v15, v6, v12, v15
	v_mul_f16_sdwa v12, v6, v12 dst_sel:DWORD dst_unused:UNUSED_PAD src0_sel:WORD_1 src1_sel:DWORD
	v_mul_f16_sdwa v1, v7, v13 dst_sel:DWORD dst_unused:UNUSED_PAD src0_sel:WORD_1 src1_sel:DWORD
	v_fma_f16 v5, v7, v13, v5
	v_mul_f16_sdwa v13, v4, v33 dst_sel:DWORD dst_unused:UNUSED_PAD src0_sel:WORD_1 src1_sel:DWORD
	v_fma_f16 v6, v6, v43, -v12
	v_mul_f16_sdwa v12, v38, v14 dst_sel:DWORD dst_unused:UNUSED_PAD src0_sel:WORD_1 src1_sel:DWORD
	v_fma_f16 v13, v4, v10, v13
	v_mul_f16_sdwa v16, v38, v42 dst_sel:DWORD dst_unused:UNUSED_PAD src0_sel:WORD_1 src1_sel:DWORD
	v_fma_f16 v12, v38, v42, -v12
	v_mul_f16_sdwa v10, v4, v10 dst_sel:DWORD dst_unused:UNUSED_PAD src0_sel:WORD_1 src1_sel:DWORD
	v_fma_f16 v1, v7, v45, -v1
	v_fma_f16 v16, v38, v14, v16
	v_fma_f16 v4, v4, v33, -v10
	v_add_f16_e32 v10, v6, v12
	v_add_f16_e32 v2, v0, v1
	;; [unrolled: 1-line block ×3, first 2 shown]
	v_fma_f16 v10, v10, -0.5, v4
	v_sub_f16_e32 v19, v15, v16
	v_add_f16_e32 v4, v6, v4
	v_fma_f16 v2, v2, -0.5, v32
	v_sub_f16_e32 v7, v3, v5
	v_fma_f16 v17, v17, -0.5, v13
	v_sub_f16_e32 v14, v6, v12
	v_fma_f16 v20, v19, s6, v10
	v_fma_f16 v10, v19, s7, v10
	v_add_f16_e32 v4, v12, v4
	v_add_f16_e32 v12, v3, v5
	;; [unrolled: 1-line block ×3, first 2 shown]
	v_fma_f16 v11, v7, s6, v2
	v_fma_f16 v18, v14, s7, v17
	v_mul_f16_e32 v31, -0.5, v20
	v_fma_f16 v2, v7, s7, v2
	v_fma_f16 v7, v14, s6, v17
	v_mul_f16_e32 v14, 0.5, v10
	v_add_f16_e32 v19, v0, v32
	v_fma_f16 v12, v12, -0.5, v9
	v_sub_f16_e32 v0, v0, v1
	v_mul_f16_e32 v20, 0xbaee, v20
	v_mul_f16_e32 v10, 0xbaee, v10
	v_add_f16_e32 v3, v5, v3
	v_add_f16_e32 v5, v15, v13
	v_fma_f16 v31, v18, s7, v31
	v_fma_f16 v14, v7, s7, v14
	v_add_f16_e32 v19, v1, v19
	v_fma_f16 v1, v0, s7, v12
	v_fma_f16 v18, v18, -0.5, v20
	v_fma_f16 v0, v0, s6, v12
	v_fma_f16 v7, v7, 0.5, v10
	v_add_f16_e32 v5, v16, v5
	v_sub_f16_e32 v33, v11, v31
	v_sub_f16_e32 v17, v2, v14
	;; [unrolled: 1-line block ×6, first 2 shown]
	v_add_f16_e32 v11, v11, v31
	v_add_f16_e32 v2, v2, v14
	v_add_f16_e32 v4, v19, v4
	v_add_f16_e32 v1, v1, v18
	v_add_f16_e32 v0, v0, v7
	v_add_f16_e32 v3, v3, v5
	v_pack_b32_f16 v3, v3, v4
	v_pack_b32_f16 v0, v0, v2
	;; [unrolled: 1-line block ×3, first 2 shown]
	ds_write_b32 v24, v3 offset:48
	ds_write2_b32 v37, v0, v1 offset0:26 offset1:40
	v_pack_b32_f16 v0, v9, v6
	v_pack_b32_f16 v1, v10, v17
	ds_write2_b32 v37, v0, v1 offset0:54 offset1:68
	v_pack_b32_f16 v0, v20, v33
	ds_write_b32 v37, v0 offset:328
.LBB0_17:
	s_or_b64 exec, exec, s[2:3]
	s_waitcnt lgkmcnt(0)
	s_barrier
	ds_read2_b32 v[0:1], v24 offset1:12
	s_mov_b32 s2, 0x18618618
	s_mov_b32 s3, 0x3f886186
	v_mad_u64_u32 v[4:5], s[0:1], s10, v8, 0
	s_waitcnt lgkmcnt(0)
	v_lshrrev_b32_e32 v7, 16, v0
	v_mul_f16_sdwa v2, v30, v7 dst_sel:DWORD dst_unused:UNUSED_PAD src0_sel:WORD_1 src1_sel:DWORD
	v_fma_f16 v2, v30, v0, v2
	v_cvt_f32_f16_e32 v2, v2
	s_movk_i32 s6, 0x1ff
	v_mad_u64_u32 v[5:6], s[0:1], s11, v8, v[5:6]
	v_cvt_f64_f32_e32 v[2:3], v2
	s_movk_i32 s7, 0xffe
	v_mul_f16_sdwa v0, v30, v0 dst_sel:DWORD dst_unused:UNUSED_PAD src0_sel:WORD_1 src1_sel:DWORD
	v_fma_f16 v0, v30, v7, -v0
	v_mul_f64 v[2:3], v[2:3], s[2:3]
	v_cvt_f32_f16_e32 v7, v0
	v_mov_b32_e32 v0, 0x7c00
	s_movk_i32 s10, 0x40f
	s_mov_b32 s11, 0x8000
	v_lshrrev_b32_e32 v11, 16, v1
	v_and_or_b32 v2, v3, s6, v2
	v_cmp_ne_u32_e32 vcc, 0, v2
	v_lshrrev_b32_e32 v6, 8, v3
	v_bfe_u32 v8, v3, 20, 11
	v_cndmask_b32_e64 v2, 0, 1, vcc
	v_sub_u32_e32 v9, 0x3f1, v8
	v_and_or_b32 v2, v6, s7, v2
	v_or_b32_e32 v6, 0x1000, v2
	v_med3_i32 v9, v9, 0, 13
	v_lshrrev_b32_e32 v10, v9, v6
	v_lshlrev_b32_e32 v9, v9, v10
	v_cmp_ne_u32_e32 vcc, v9, v6
	v_cndmask_b32_e64 v6, 0, 1, vcc
	v_add_u32_e32 v8, 0xfffffc10, v8
	v_or_b32_e32 v6, v10, v6
	v_lshl_or_b32 v9, v8, 12, v2
	v_cmp_gt_i32_e32 vcc, 1, v8
	v_cndmask_b32_e32 v6, v9, v6, vcc
	v_and_b32_e32 v9, 7, v6
	v_cmp_lt_i32_e32 vcc, 5, v9
	v_cmp_eq_u32_e64 s[0:1], 3, v9
	v_lshrrev_b32_e32 v6, 2, v6
	s_or_b64 vcc, s[0:1], vcc
	v_addc_co_u32_e32 v9, vcc, 0, v6, vcc
	v_cvt_f64_f32_e32 v[6:7], v7
	v_cmp_gt_i32_e32 vcc, 31, v8
	v_cndmask_b32_e32 v9, v0, v9, vcc
	v_cmp_ne_u32_e32 vcc, 0, v2
	v_mul_f64 v[6:7], v[6:7], s[2:3]
	v_cndmask_b32_e64 v2, 0, 1, vcc
	v_lshl_or_b32 v2, v2, 9, v0
	v_cmp_eq_u32_e32 vcc, s10, v8
	v_cndmask_b32_e32 v2, v9, v2, vcc
	v_lshrrev_b32_e32 v3, 16, v3
	v_and_or_b32 v8, v3, s11, v2
	v_and_b32_e32 v8, 0xffff, v8
	v_and_or_b32 v2, v7, s6, v6
	v_cmp_ne_u32_e32 vcc, 0, v2
	v_cndmask_b32_e64 v2, 0, 1, vcc
	v_lshrrev_b32_e32 v3, 8, v7
	v_bfe_u32 v6, v7, 20, 11
	v_and_or_b32 v2, v3, s7, v2
	v_sub_u32_e32 v9, 0x3f1, v6
	v_or_b32_e32 v3, 0x1000, v2
	v_med3_i32 v9, v9, 0, 13
	v_lshrrev_b32_e32 v10, v9, v3
	v_lshlrev_b32_e32 v9, v9, v10
	v_cmp_ne_u32_e32 vcc, v9, v3
	v_cndmask_b32_e64 v3, 0, 1, vcc
	v_add_u32_e32 v6, 0xfffffc10, v6
	v_or_b32_e32 v3, v10, v3
	v_lshl_or_b32 v9, v6, 12, v2
	v_cmp_gt_i32_e32 vcc, 1, v6
	v_cndmask_b32_e32 v3, v9, v3, vcc
	v_and_b32_e32 v9, 7, v3
	v_cmp_lt_i32_e32 vcc, 5, v9
	v_cmp_eq_u32_e64 s[0:1], 3, v9
	v_lshrrev_b32_e32 v3, 2, v3
	s_or_b64 vcc, s[0:1], vcc
	v_addc_co_u32_e32 v3, vcc, 0, v3, vcc
	v_cmp_gt_i32_e32 vcc, 31, v6
	v_cndmask_b32_e32 v9, v0, v3, vcc
	v_cmp_ne_u32_e32 vcc, 0, v2
	v_cndmask_b32_e64 v2, 0, 1, vcc
	v_lshl_or_b32 v10, v2, 9, v0
	v_mad_u64_u32 v[2:3], s[0:1], s8, v28, 0
	v_cmp_eq_u32_e32 vcc, s10, v6
	v_cndmask_b32_e32 v9, v9, v10, vcc
	v_lshrrev_b32_e32 v10, 16, v7
	v_mad_u64_u32 v[6:7], s[0:1], s9, v28, v[3:4]
	v_mul_f16_sdwa v3, v29, v11 dst_sel:DWORD dst_unused:UNUSED_PAD src0_sel:WORD_1 src1_sel:DWORD
	v_fma_f16 v3, v29, v1, v3
	v_cvt_f32_f16_e32 v7, v3
	v_mov_b32_e32 v3, v6
	v_lshlrev_b64 v[4:5], 2, v[4:5]
	v_and_or_b32 v9, v10, s11, v9
	v_cvt_f64_f32_e32 v[6:7], v7
	v_lshl_or_b32 v8, v9, 16, v8
	v_mov_b32_e32 v9, s5
	v_add_co_u32_e32 v10, vcc, s4, v4
	v_mul_f64 v[6:7], v[6:7], s[2:3]
	v_lshlrev_b64 v[2:3], 2, v[2:3]
	v_addc_co_u32_e32 v9, vcc, v9, v5, vcc
	v_add_co_u32_e32 v2, vcc, v10, v2
	v_addc_co_u32_e32 v3, vcc, v9, v3, vcc
	v_and_or_b32 v4, v7, s6, v6
	v_cmp_ne_u32_e32 vcc, 0, v4
	v_cndmask_b32_e64 v4, 0, 1, vcc
	v_lshrrev_b32_e32 v5, 8, v7
	v_and_or_b32 v6, v5, s7, v4
	v_bfe_u32 v5, v7, 20, 11
	global_store_dword v[2:3], v8, off
	v_sub_u32_e32 v8, 0x3f1, v5
	v_or_b32_e32 v4, 0x1000, v6
	v_med3_i32 v8, v8, 0, 13
	v_lshrrev_b32_e32 v12, v8, v4
	v_lshlrev_b32_e32 v8, v8, v12
	v_mul_f16_sdwa v1, v29, v1 dst_sel:DWORD dst_unused:UNUSED_PAD src0_sel:WORD_1 src1_sel:DWORD
	v_cmp_ne_u32_e32 vcc, v8, v4
	v_fma_f16 v1, v29, v11, -v1
	v_cndmask_b32_e64 v4, 0, 1, vcc
	v_add_u32_e32 v8, 0xfffffc10, v5
	v_cvt_f32_f16_e32 v1, v1
	v_or_b32_e32 v4, v12, v4
	v_lshl_or_b32 v5, v8, 12, v6
	v_cmp_gt_i32_e32 vcc, 1, v8
	v_cndmask_b32_e32 v4, v5, v4, vcc
	v_and_b32_e32 v5, 7, v4
	v_cmp_lt_i32_e32 vcc, 5, v5
	v_cmp_eq_u32_e64 s[0:1], 3, v5
	v_lshrrev_b32_e32 v11, 2, v4
	v_cvt_f64_f32_e32 v[4:5], v1
	s_or_b64 vcc, s[0:1], vcc
	v_addc_co_u32_e32 v1, vcc, 0, v11, vcc
	v_mul_f64 v[4:5], v[4:5], s[2:3]
	v_cmp_gt_i32_e32 vcc, 31, v8
	v_cndmask_b32_e32 v1, v0, v1, vcc
	v_cmp_ne_u32_e32 vcc, 0, v6
	v_cndmask_b32_e64 v6, 0, 1, vcc
	v_lshl_or_b32 v6, v6, 9, v0
	v_cmp_eq_u32_e32 vcc, s10, v8
	v_cndmask_b32_e32 v1, v1, v6, vcc
	v_and_or_b32 v4, v5, s6, v4
	v_lshrrev_b32_e32 v6, 16, v7
	v_cmp_ne_u32_e32 vcc, 0, v4
	v_and_or_b32 v1, v6, s11, v1
	v_cndmask_b32_e64 v4, 0, 1, vcc
	v_lshrrev_b32_e32 v6, 8, v5
	v_bfe_u32 v7, v5, 20, 11
	v_and_or_b32 v4, v6, s7, v4
	v_sub_u32_e32 v8, 0x3f1, v7
	v_or_b32_e32 v6, 0x1000, v4
	v_med3_i32 v8, v8, 0, 13
	v_lshrrev_b32_e32 v11, v8, v6
	v_lshlrev_b32_e32 v8, v8, v11
	v_cmp_ne_u32_e32 vcc, v8, v6
	v_cndmask_b32_e64 v6, 0, 1, vcc
	v_add_u32_e32 v8, 0xfffffc10, v7
	v_or_b32_e32 v6, v11, v6
	v_lshl_or_b32 v7, v8, 12, v4
	v_cmp_gt_i32_e32 vcc, 1, v8
	v_cndmask_b32_e32 v6, v7, v6, vcc
	v_and_b32_e32 v7, 7, v6
	v_cmp_lt_i32_e32 vcc, 5, v7
	v_cmp_eq_u32_e64 s[0:1], 3, v7
	v_lshrrev_b32_e32 v6, 2, v6
	s_or_b64 vcc, s[0:1], vcc
	v_addc_co_u32_e32 v6, vcc, 0, v6, vcc
	v_cmp_gt_i32_e32 vcc, 31, v8
	v_cndmask_b32_e32 v11, v0, v6, vcc
	ds_read2_b32 v[6:7], v24 offset0:24 offset1:48
	v_cmp_ne_u32_e32 vcc, 0, v4
	v_cndmask_b32_e64 v4, 0, 1, vcc
	v_lshl_or_b32 v4, v4, 9, v0
	v_cmp_eq_u32_e32 vcc, s10, v8
	s_waitcnt lgkmcnt(0)
	v_lshrrev_b32_e32 v8, 16, v6
	v_cndmask_b32_e32 v4, v11, v4, vcc
	v_mul_f16_sdwa v11, v27, v8 dst_sel:DWORD dst_unused:UNUSED_PAD src0_sel:WORD_1 src1_sel:DWORD
	v_fma_f16 v11, v27, v6, v11
	v_cvt_f32_f16_e32 v11, v11
	v_lshrrev_b32_e32 v5, 16, v5
	v_and_or_b32 v4, v5, s11, v4
	v_and_b32_e32 v1, 0xffff, v1
	v_lshl_or_b32 v12, v4, 16, v1
	v_cvt_f64_f32_e32 v[4:5], v11
	s_mul_i32 s0, s9, 48
	s_mul_hi_u32 s4, s8, 48
	s_add_i32 s4, s4, s0
	v_mul_f64 v[4:5], v[4:5], s[2:3]
	s_mul_i32 s5, s8, 48
	v_mov_b32_e32 v11, s4
	v_add_co_u32_e32 v1, vcc, s5, v2
	v_addc_co_u32_e32 v2, vcc, v3, v11, vcc
	global_store_dword v[1:2], v12, off
	v_and_or_b32 v3, v5, s6, v4
	v_cmp_ne_u32_e32 vcc, 0, v3
	v_cndmask_b32_e64 v3, 0, 1, vcc
	v_lshrrev_b32_e32 v4, 8, v5
	v_and_or_b32 v11, v4, s7, v3
	v_bfe_u32 v4, v5, 20, 11
	v_sub_u32_e32 v12, 0x3f1, v4
	v_or_b32_e32 v3, 0x1000, v11
	v_med3_i32 v12, v12, 0, 13
	v_lshrrev_b32_e32 v13, v12, v3
	v_lshlrev_b32_e32 v12, v12, v13
	v_mul_f16_sdwa v6, v27, v6 dst_sel:DWORD dst_unused:UNUSED_PAD src0_sel:WORD_1 src1_sel:DWORD
	v_cmp_ne_u32_e32 vcc, v12, v3
	v_fma_f16 v6, v27, v8, -v6
	v_cndmask_b32_e64 v3, 0, 1, vcc
	v_add_u32_e32 v12, 0xfffffc10, v4
	v_cvt_f32_f16_e32 v6, v6
	v_or_b32_e32 v3, v13, v3
	v_lshl_or_b32 v4, v12, 12, v11
	v_cmp_gt_i32_e32 vcc, 1, v12
	v_cndmask_b32_e32 v3, v4, v3, vcc
	v_and_b32_e32 v4, 7, v3
	v_cmp_lt_i32_e32 vcc, 5, v4
	v_cmp_eq_u32_e64 s[0:1], 3, v4
	v_lshrrev_b32_e32 v8, 2, v3
	v_cvt_f64_f32_e32 v[3:4], v6
	s_or_b64 vcc, s[0:1], vcc
	v_addc_co_u32_e32 v6, vcc, 0, v8, vcc
	v_mul_f64 v[3:4], v[3:4], s[2:3]
	v_cmp_gt_i32_e32 vcc, 31, v12
	v_cndmask_b32_e32 v6, v0, v6, vcc
	v_cmp_ne_u32_e32 vcc, 0, v11
	v_cndmask_b32_e64 v8, 0, 1, vcc
	v_lshl_or_b32 v8, v8, 9, v0
	v_cmp_eq_u32_e32 vcc, s10, v12
	v_cndmask_b32_e32 v6, v6, v8, vcc
	v_and_or_b32 v3, v4, s6, v3
	v_lshrrev_b32_e32 v5, 16, v5
	v_cmp_ne_u32_e32 vcc, 0, v3
	v_and_or_b32 v8, v5, s11, v6
	v_cndmask_b32_e64 v3, 0, 1, vcc
	v_lshrrev_b32_e32 v5, 8, v4
	v_bfe_u32 v6, v4, 20, 11
	v_and_or_b32 v3, v5, s7, v3
	v_sub_u32_e32 v11, 0x3f1, v6
	v_or_b32_e32 v5, 0x1000, v3
	v_med3_i32 v11, v11, 0, 13
	v_lshrrev_b32_e32 v12, v11, v5
	v_lshlrev_b32_e32 v11, v11, v12
	v_cmp_ne_u32_e32 vcc, v11, v5
	v_cndmask_b32_e64 v5, 0, 1, vcc
	v_add_u32_e32 v6, 0xfffffc10, v6
	v_or_b32_e32 v5, v12, v5
	v_lshl_or_b32 v11, v6, 12, v3
	v_cmp_gt_i32_e32 vcc, 1, v6
	v_cndmask_b32_e32 v5, v11, v5, vcc
	v_and_b32_e32 v11, 7, v5
	v_cmp_lt_i32_e32 vcc, 5, v11
	v_cmp_eq_u32_e64 s[0:1], 3, v11
	ds_read_b32 v11, v37 offset:144
	v_lshrrev_b32_e32 v5, 2, v5
	s_or_b64 vcc, s[0:1], vcc
	v_addc_co_u32_e32 v5, vcc, 0, v5, vcc
	s_waitcnt lgkmcnt(0)
	v_lshrrev_b32_e32 v12, 16, v11
	v_mul_f16_sdwa v13, v26, v12 dst_sel:DWORD dst_unused:UNUSED_PAD src0_sel:WORD_1 src1_sel:DWORD
	v_fma_f16 v13, v26, v11, v13
	v_cmp_gt_i32_e32 vcc, 31, v6
	v_cvt_f32_f16_e32 v13, v13
	v_cndmask_b32_e32 v5, v0, v5, vcc
	v_cmp_ne_u32_e32 vcc, 0, v3
	v_cndmask_b32_e64 v3, 0, 1, vcc
	v_lshl_or_b32 v3, v3, 9, v0
	v_cmp_eq_u32_e32 vcc, s10, v6
	v_cndmask_b32_e32 v3, v5, v3, vcc
	v_cvt_f64_f32_e32 v[5:6], v13
	v_lshrrev_b32_e32 v4, 16, v4
	v_and_or_b32 v13, v4, s11, v3
	v_add_co_u32_e32 v1, vcc, s5, v1
	v_mul_f64 v[3:4], v[5:6], s[2:3]
	v_mov_b32_e32 v6, s4
	v_and_b32_e32 v8, 0xffff, v8
	v_addc_co_u32_e32 v2, vcc, v2, v6, vcc
	v_lshl_or_b32 v5, v13, 16, v8
	global_store_dword v[1:2], v5, off
	v_mul_f16_sdwa v11, v26, v11 dst_sel:DWORD dst_unused:UNUSED_PAD src0_sel:WORD_1 src1_sel:DWORD
	v_and_or_b32 v3, v4, s6, v3
	v_cmp_ne_u32_e32 vcc, 0, v3
	v_cndmask_b32_e64 v3, 0, 1, vcc
	v_lshrrev_b32_e32 v5, 8, v4
	v_bfe_u32 v6, v4, 20, 11
	v_and_or_b32 v3, v5, s7, v3
	v_sub_u32_e32 v8, 0x3f1, v6
	v_or_b32_e32 v5, 0x1000, v3
	v_med3_i32 v8, v8, 0, 13
	v_lshrrev_b32_e32 v13, v8, v5
	v_lshlrev_b32_e32 v8, v8, v13
	v_cmp_ne_u32_e32 vcc, v8, v5
	v_fma_f16 v11, v26, v12, -v11
	v_cndmask_b32_e64 v5, 0, 1, vcc
	v_add_u32_e32 v8, 0xfffffc10, v6
	v_cvt_f32_f16_e32 v11, v11
	v_or_b32_e32 v5, v13, v5
	v_lshl_or_b32 v6, v8, 12, v3
	v_cmp_gt_i32_e32 vcc, 1, v8
	v_cndmask_b32_e32 v5, v6, v5, vcc
	v_and_b32_e32 v6, 7, v5
	v_cmp_lt_i32_e32 vcc, 5, v6
	v_cmp_eq_u32_e64 s[0:1], 3, v6
	v_lshrrev_b32_e32 v12, 2, v5
	v_cvt_f64_f32_e32 v[5:6], v11
	s_or_b64 vcc, s[0:1], vcc
	v_addc_co_u32_e32 v11, vcc, 0, v12, vcc
	v_mul_f64 v[5:6], v[5:6], s[2:3]
	v_cmp_gt_i32_e32 vcc, 31, v8
	v_cndmask_b32_e32 v11, v0, v11, vcc
	v_cmp_ne_u32_e32 vcc, 0, v3
	v_cndmask_b32_e64 v3, 0, 1, vcc
	v_lshl_or_b32 v3, v3, 9, v0
	v_cmp_eq_u32_e32 vcc, s10, v8
	v_cndmask_b32_e32 v3, v11, v3, vcc
	v_lshrrev_b32_e32 v4, 16, v4
	v_and_or_b32 v8, v4, s11, v3
	v_and_or_b32 v3, v6, s6, v5
	v_cmp_ne_u32_e32 vcc, 0, v3
	v_cndmask_b32_e64 v3, 0, 1, vcc
	v_lshrrev_b32_e32 v4, 8, v6
	v_bfe_u32 v5, v6, 20, 11
	v_and_or_b32 v3, v4, s7, v3
	v_sub_u32_e32 v11, 0x3f1, v5
	v_or_b32_e32 v4, 0x1000, v3
	v_med3_i32 v11, v11, 0, 13
	v_lshrrev_b32_e32 v12, v11, v4
	v_lshlrev_b32_e32 v11, v11, v12
	v_cmp_ne_u32_e32 vcc, v11, v4
	v_cndmask_b32_e64 v4, 0, 1, vcc
	v_add_u32_e32 v5, 0xfffffc10, v5
	v_or_b32_e32 v4, v12, v4
	v_lshl_or_b32 v11, v5, 12, v3
	v_cmp_gt_i32_e32 vcc, 1, v5
	v_cndmask_b32_e32 v4, v11, v4, vcc
	v_and_b32_e32 v11, 7, v4
	v_cmp_lt_i32_e32 vcc, 5, v11
	v_cmp_eq_u32_e64 s[0:1], 3, v11
	v_lshrrev_b32_e32 v11, 16, v7
	v_lshrrev_b32_e32 v4, 2, v4
	s_or_b64 vcc, s[0:1], vcc
	v_mul_f16_sdwa v12, v25, v11 dst_sel:DWORD dst_unused:UNUSED_PAD src0_sel:WORD_1 src1_sel:DWORD
	v_addc_co_u32_e32 v4, vcc, 0, v4, vcc
	v_fma_f16 v12, v25, v7, v12
	v_cmp_gt_i32_e32 vcc, 31, v5
	v_cvt_f32_f16_e32 v12, v12
	v_cndmask_b32_e32 v4, v0, v4, vcc
	v_cmp_ne_u32_e32 vcc, 0, v3
	v_cndmask_b32_e64 v3, 0, 1, vcc
	v_lshl_or_b32 v3, v3, 9, v0
	v_cmp_eq_u32_e32 vcc, s10, v5
	v_cndmask_b32_e32 v5, v4, v3, vcc
	v_cvt_f64_f32_e32 v[3:4], v12
	v_lshrrev_b32_e32 v6, 16, v6
	v_and_or_b32 v5, v6, s11, v5
	v_and_b32_e32 v6, 0xffff, v8
	v_mul_f64 v[3:4], v[3:4], s[2:3]
	v_lshl_or_b32 v5, v5, 16, v6
	v_mov_b32_e32 v6, s4
	v_add_co_u32_e32 v1, vcc, s5, v1
	v_addc_co_u32_e32 v2, vcc, v2, v6, vcc
	global_store_dword v[1:2], v5, off
	v_and_or_b32 v3, v4, s6, v3
	v_cmp_ne_u32_e32 vcc, 0, v3
	v_cndmask_b32_e64 v3, 0, 1, vcc
	v_lshrrev_b32_e32 v5, 8, v4
	v_bfe_u32 v6, v4, 20, 11
	v_and_or_b32 v3, v5, s7, v3
	v_sub_u32_e32 v8, 0x3f1, v6
	v_or_b32_e32 v5, 0x1000, v3
	v_med3_i32 v8, v8, 0, 13
	v_lshrrev_b32_e32 v12, v8, v5
	v_lshlrev_b32_e32 v8, v8, v12
	v_mul_f16_sdwa v7, v25, v7 dst_sel:DWORD dst_unused:UNUSED_PAD src0_sel:WORD_1 src1_sel:DWORD
	v_cmp_ne_u32_e32 vcc, v8, v5
	v_fma_f16 v7, v25, v11, -v7
	v_cndmask_b32_e64 v5, 0, 1, vcc
	v_add_u32_e32 v8, 0xfffffc10, v6
	v_cvt_f32_f16_e32 v7, v7
	v_or_b32_e32 v5, v12, v5
	v_lshl_or_b32 v6, v8, 12, v3
	v_cmp_gt_i32_e32 vcc, 1, v8
	v_cndmask_b32_e32 v5, v6, v5, vcc
	v_and_b32_e32 v6, 7, v5
	v_cmp_lt_i32_e32 vcc, 5, v6
	v_cmp_eq_u32_e64 s[0:1], 3, v6
	v_lshrrev_b32_e32 v11, 2, v5
	v_cvt_f64_f32_e32 v[5:6], v7
	s_or_b64 vcc, s[0:1], vcc
	v_addc_co_u32_e32 v7, vcc, 0, v11, vcc
	v_mul_f64 v[5:6], v[5:6], s[2:3]
	v_cmp_gt_i32_e32 vcc, 31, v8
	v_cndmask_b32_e32 v7, v0, v7, vcc
	v_cmp_ne_u32_e32 vcc, 0, v3
	v_cndmask_b32_e64 v3, 0, 1, vcc
	v_lshl_or_b32 v3, v3, 9, v0
	v_cmp_eq_u32_e32 vcc, s10, v8
	v_cndmask_b32_e32 v3, v7, v3, vcc
	v_lshrrev_b32_e32 v4, 16, v4
	v_and_or_b32 v11, v4, s11, v3
	v_and_or_b32 v3, v6, s6, v5
	v_cmp_ne_u32_e32 vcc, 0, v3
	v_cndmask_b32_e64 v3, 0, 1, vcc
	v_lshrrev_b32_e32 v4, 8, v6
	v_bfe_u32 v5, v6, 20, 11
	v_and_or_b32 v3, v4, s7, v3
	v_sub_u32_e32 v7, 0x3f1, v5
	v_or_b32_e32 v4, 0x1000, v3
	v_med3_i32 v7, v7, 0, 13
	v_lshrrev_b32_e32 v8, v7, v4
	v_lshlrev_b32_e32 v7, v7, v8
	v_cmp_ne_u32_e32 vcc, v7, v4
	v_cndmask_b32_e64 v4, 0, 1, vcc
	v_add_u32_e32 v5, 0xfffffc10, v5
	v_or_b32_e32 v4, v8, v4
	v_lshl_or_b32 v7, v5, 12, v3
	v_cmp_gt_i32_e32 vcc, 1, v5
	v_cndmask_b32_e32 v4, v7, v4, vcc
	v_and_b32_e32 v7, 7, v4
	v_cmp_lt_i32_e32 vcc, 5, v7
	v_cmp_eq_u32_e64 s[0:1], 3, v7
	v_lshrrev_b32_e32 v4, 2, v4
	s_or_b64 vcc, s[0:1], vcc
	v_addc_co_u32_e32 v4, vcc, 0, v4, vcc
	ds_read2_b32 v[7:8], v24 offset0:60 offset1:72
	v_cmp_gt_i32_e32 vcc, 31, v5
	v_cndmask_b32_e32 v12, v0, v4, vcc
	v_cmp_ne_u32_e32 vcc, 0, v3
	v_cndmask_b32_e64 v13, 0, 1, vcc
	v_lshl_or_b32 v13, v13, 9, v0
	v_cmp_eq_u32_e32 vcc, s10, v5
	v_cndmask_b32_e32 v12, v12, v13, vcc
	s_waitcnt lgkmcnt(0)
	v_lshrrev_b32_e32 v13, 16, v7
	v_mul_f16_sdwa v5, v22, v13 dst_sel:DWORD dst_unused:UNUSED_PAD src0_sel:WORD_1 src1_sel:DWORD
	v_mad_u64_u32 v[3:4], s[0:1], s8, v23, 0
	v_fma_f16 v5, v22, v7, v5
	v_cvt_f32_f16_e32 v14, v5
	v_mad_u64_u32 v[4:5], s[0:1], s9, v23, v[4:5]
	v_lshrrev_b32_e32 v15, 16, v6
	v_cvt_f64_f32_e32 v[5:6], v14
	v_lshlrev_b64 v[3:4], 2, v[3:4]
	v_and_or_b32 v12, v15, s11, v12
	v_and_b32_e32 v11, 0xffff, v11
	v_mul_f64 v[5:6], v[5:6], s[2:3]
	v_add_co_u32_e32 v3, vcc, v10, v3
	v_lshl_or_b32 v11, v12, 16, v11
	v_addc_co_u32_e32 v4, vcc, v9, v4, vcc
	global_store_dword v[3:4], v11, off
	v_mul_f16_sdwa v7, v22, v7 dst_sel:DWORD dst_unused:UNUSED_PAD src0_sel:WORD_1 src1_sel:DWORD
	v_and_or_b32 v3, v6, s6, v5
	v_cmp_ne_u32_e32 vcc, 0, v3
	v_cndmask_b32_e64 v3, 0, 1, vcc
	v_lshrrev_b32_e32 v4, 8, v6
	v_and_or_b32 v5, v4, s7, v3
	v_bfe_u32 v4, v6, 20, 11
	v_sub_u32_e32 v9, 0x3f1, v4
	v_or_b32_e32 v3, 0x1000, v5
	v_med3_i32 v9, v9, 0, 13
	v_lshrrev_b32_e32 v10, v9, v3
	v_lshlrev_b32_e32 v9, v9, v10
	v_cmp_ne_u32_e32 vcc, v9, v3
	v_fma_f16 v7, v22, v13, -v7
	v_cndmask_b32_e64 v3, 0, 1, vcc
	v_add_u32_e32 v9, 0xfffffc10, v4
	v_cvt_f32_f16_e32 v7, v7
	v_or_b32_e32 v3, v10, v3
	v_lshl_or_b32 v4, v9, 12, v5
	v_cmp_gt_i32_e32 vcc, 1, v9
	v_cndmask_b32_e32 v3, v4, v3, vcc
	v_and_b32_e32 v4, 7, v3
	v_cmp_lt_i32_e32 vcc, 5, v4
	v_cmp_eq_u32_e64 s[0:1], 3, v4
	v_lshrrev_b32_e32 v10, 2, v3
	v_cvt_f64_f32_e32 v[3:4], v7
	s_or_b64 vcc, s[0:1], vcc
	v_addc_co_u32_e32 v7, vcc, 0, v10, vcc
	v_mul_f64 v[3:4], v[3:4], s[2:3]
	v_cmp_gt_i32_e32 vcc, 31, v9
	v_cndmask_b32_e32 v7, v0, v7, vcc
	v_cmp_ne_u32_e32 vcc, 0, v5
	v_cndmask_b32_e64 v5, 0, 1, vcc
	v_lshl_or_b32 v5, v5, 9, v0
	v_cmp_eq_u32_e32 vcc, s10, v9
	v_cndmask_b32_e32 v5, v7, v5, vcc
	v_and_or_b32 v3, v4, s6, v3
	v_lshrrev_b32_e32 v6, 16, v6
	v_cmp_ne_u32_e32 vcc, 0, v3
	v_and_or_b32 v7, v6, s11, v5
	v_cndmask_b32_e64 v3, 0, 1, vcc
	v_lshrrev_b32_e32 v5, 8, v4
	v_bfe_u32 v6, v4, 20, 11
	v_and_or_b32 v3, v5, s7, v3
	v_sub_u32_e32 v9, 0x3f1, v6
	v_or_b32_e32 v5, 0x1000, v3
	v_med3_i32 v9, v9, 0, 13
	v_lshrrev_b32_e32 v10, v9, v5
	v_lshlrev_b32_e32 v9, v9, v10
	v_cmp_ne_u32_e32 vcc, v9, v5
	v_cndmask_b32_e64 v5, 0, 1, vcc
	v_add_u32_e32 v6, 0xfffffc10, v6
	v_or_b32_e32 v5, v10, v5
	v_lshl_or_b32 v9, v6, 12, v3
	v_cmp_gt_i32_e32 vcc, 1, v6
	v_cndmask_b32_e32 v5, v9, v5, vcc
	v_and_b32_e32 v9, 7, v5
	v_cmp_lt_i32_e32 vcc, 5, v9
	v_cmp_eq_u32_e64 s[0:1], 3, v9
	v_lshrrev_b32_e32 v9, 16, v8
	v_lshrrev_b32_e32 v5, 2, v5
	s_or_b64 vcc, s[0:1], vcc
	v_mul_f16_sdwa v10, v21, v9 dst_sel:DWORD dst_unused:UNUSED_PAD src0_sel:WORD_1 src1_sel:DWORD
	v_addc_co_u32_e32 v5, vcc, 0, v5, vcc
	v_fma_f16 v10, v21, v8, v10
	v_cmp_gt_i32_e32 vcc, 31, v6
	v_cvt_f32_f16_e32 v10, v10
	v_cndmask_b32_e32 v5, v0, v5, vcc
	v_cmp_ne_u32_e32 vcc, 0, v3
	v_cndmask_b32_e64 v3, 0, 1, vcc
	v_lshl_or_b32 v3, v3, 9, v0
	v_cmp_eq_u32_e32 vcc, s10, v6
	v_cndmask_b32_e32 v3, v5, v3, vcc
	v_cvt_f64_f32_e32 v[5:6], v10
	v_lshrrev_b32_e32 v4, 16, v4
	v_and_or_b32 v10, v4, s11, v3
	v_mov_b32_e32 v11, 0x60
	v_mul_f64 v[3:4], v[5:6], s[2:3]
	v_mad_u64_u32 v[1:2], s[0:1], s8, v11, v[1:2]
	v_and_b32_e32 v5, 0xffff, v7
	s_mul_i32 s0, s9, 0x60
	v_lshl_or_b32 v5, v10, 16, v5
	v_add_u32_e32 v2, s0, v2
	global_store_dword v[1:2], v5, off
	v_and_or_b32 v3, v4, s6, v3
	v_cmp_ne_u32_e32 vcc, 0, v3
	v_cndmask_b32_e64 v3, 0, 1, vcc
	v_lshrrev_b32_e32 v5, 8, v4
	v_bfe_u32 v6, v4, 20, 11
	v_and_or_b32 v3, v5, s7, v3
	v_sub_u32_e32 v7, 0x3f1, v6
	v_or_b32_e32 v5, 0x1000, v3
	v_med3_i32 v7, v7, 0, 13
	v_lshrrev_b32_e32 v10, v7, v5
	v_lshlrev_b32_e32 v7, v7, v10
	v_mul_f16_sdwa v8, v21, v8 dst_sel:DWORD dst_unused:UNUSED_PAD src0_sel:WORD_1 src1_sel:DWORD
	v_cmp_ne_u32_e32 vcc, v7, v5
	v_fma_f16 v8, v21, v9, -v8
	v_cndmask_b32_e64 v5, 0, 1, vcc
	v_add_u32_e32 v7, 0xfffffc10, v6
	v_cvt_f32_f16_e32 v8, v8
	v_or_b32_e32 v5, v10, v5
	v_lshl_or_b32 v6, v7, 12, v3
	v_cmp_gt_i32_e32 vcc, 1, v7
	v_cndmask_b32_e32 v5, v6, v5, vcc
	v_and_b32_e32 v6, 7, v5
	v_cmp_lt_i32_e32 vcc, 5, v6
	v_cmp_eq_u32_e64 s[0:1], 3, v6
	v_lshrrev_b32_e32 v9, 2, v5
	v_cvt_f64_f32_e32 v[5:6], v8
	s_or_b64 vcc, s[0:1], vcc
	v_addc_co_u32_e32 v8, vcc, 0, v9, vcc
	v_mul_f64 v[5:6], v[5:6], s[2:3]
	v_cmp_gt_i32_e32 vcc, 31, v7
	v_cndmask_b32_e32 v8, v0, v8, vcc
	v_cmp_ne_u32_e32 vcc, 0, v3
	v_cndmask_b32_e64 v3, 0, 1, vcc
	v_lshl_or_b32 v3, v3, 9, v0
	v_cmp_eq_u32_e32 vcc, s10, v7
	v_cndmask_b32_e32 v3, v8, v3, vcc
	v_lshrrev_b32_e32 v4, 16, v4
	v_and_or_b32 v3, v4, s11, v3
	v_and_or_b32 v4, v6, s6, v5
	v_cmp_ne_u32_e32 vcc, 0, v4
	v_cndmask_b32_e64 v4, 0, 1, vcc
	v_lshrrev_b32_e32 v5, 8, v6
	v_bfe_u32 v7, v6, 20, 11
	v_and_or_b32 v4, v5, s7, v4
	v_sub_u32_e32 v8, 0x3f1, v7
	v_or_b32_e32 v5, 0x1000, v4
	v_med3_i32 v8, v8, 0, 13
	v_lshrrev_b32_e32 v9, v8, v5
	v_lshlrev_b32_e32 v8, v8, v9
	v_cmp_ne_u32_e32 vcc, v8, v5
	v_cndmask_b32_e64 v5, 0, 1, vcc
	v_add_u32_e32 v7, 0xfffffc10, v7
	v_or_b32_e32 v5, v9, v5
	v_lshl_or_b32 v8, v7, 12, v4
	v_cmp_gt_i32_e32 vcc, 1, v7
	v_cndmask_b32_e32 v5, v8, v5, vcc
	v_and_b32_e32 v8, 7, v5
	v_cmp_lt_i32_e32 vcc, 5, v8
	v_cmp_eq_u32_e64 s[0:1], 3, v8
	v_lshrrev_b32_e32 v5, 2, v5
	s_or_b64 vcc, s[0:1], vcc
	v_addc_co_u32_e32 v5, vcc, 0, v5, vcc
	v_cmp_gt_i32_e32 vcc, 31, v7
	v_cndmask_b32_e32 v5, v0, v5, vcc
	v_cmp_ne_u32_e32 vcc, 0, v4
	v_cndmask_b32_e64 v4, 0, 1, vcc
	v_lshl_or_b32 v0, v4, 9, v0
	v_cmp_eq_u32_e32 vcc, s10, v7
	v_cndmask_b32_e32 v0, v5, v0, vcc
	v_lshrrev_b32_e32 v4, 16, v6
	v_and_or_b32 v0, v4, s11, v0
	v_and_b32_e32 v3, 0xffff, v3
	v_lshl_or_b32 v3, v0, 16, v3
	v_mov_b32_e32 v4, s4
	v_add_co_u32_e32 v0, vcc, s5, v1
	v_addc_co_u32_e32 v1, vcc, v2, v4, vcc
	global_store_dword v[0:1], v3, off
.LBB0_18:
	s_endpgm
	.section	.rodata,"a",@progbits
	.p2align	6, 0x0
	.amdhsa_kernel bluestein_single_fwd_len84_dim1_half_op_CI_CI
		.amdhsa_group_segment_fixed_size 3360
		.amdhsa_private_segment_fixed_size 0
		.amdhsa_kernarg_size 104
		.amdhsa_user_sgpr_count 6
		.amdhsa_user_sgpr_private_segment_buffer 1
		.amdhsa_user_sgpr_dispatch_ptr 0
		.amdhsa_user_sgpr_queue_ptr 0
		.amdhsa_user_sgpr_kernarg_segment_ptr 1
		.amdhsa_user_sgpr_dispatch_id 0
		.amdhsa_user_sgpr_flat_scratch_init 0
		.amdhsa_user_sgpr_private_segment_size 0
		.amdhsa_uses_dynamic_stack 0
		.amdhsa_system_sgpr_private_segment_wavefront_offset 0
		.amdhsa_system_sgpr_workgroup_id_x 1
		.amdhsa_system_sgpr_workgroup_id_y 0
		.amdhsa_system_sgpr_workgroup_id_z 0
		.amdhsa_system_sgpr_workgroup_info 0
		.amdhsa_system_vgpr_workitem_id 0
		.amdhsa_next_free_vgpr 64
		.amdhsa_next_free_sgpr 20
		.amdhsa_reserve_vcc 1
		.amdhsa_reserve_flat_scratch 0
		.amdhsa_float_round_mode_32 0
		.amdhsa_float_round_mode_16_64 0
		.amdhsa_float_denorm_mode_32 3
		.amdhsa_float_denorm_mode_16_64 3
		.amdhsa_dx10_clamp 1
		.amdhsa_ieee_mode 1
		.amdhsa_fp16_overflow 0
		.amdhsa_exception_fp_ieee_invalid_op 0
		.amdhsa_exception_fp_denorm_src 0
		.amdhsa_exception_fp_ieee_div_zero 0
		.amdhsa_exception_fp_ieee_overflow 0
		.amdhsa_exception_fp_ieee_underflow 0
		.amdhsa_exception_fp_ieee_inexact 0
		.amdhsa_exception_int_div_zero 0
	.end_amdhsa_kernel
	.text
.Lfunc_end0:
	.size	bluestein_single_fwd_len84_dim1_half_op_CI_CI, .Lfunc_end0-bluestein_single_fwd_len84_dim1_half_op_CI_CI
                                        ; -- End function
	.section	.AMDGPU.csdata,"",@progbits
; Kernel info:
; codeLenInByte = 9732
; NumSgprs: 24
; NumVgprs: 64
; ScratchSize: 0
; MemoryBound: 0
; FloatMode: 240
; IeeeMode: 1
; LDSByteSize: 3360 bytes/workgroup (compile time only)
; SGPRBlocks: 2
; VGPRBlocks: 15
; NumSGPRsForWavesPerEU: 24
; NumVGPRsForWavesPerEU: 64
; Occupancy: 4
; WaveLimiterHint : 1
; COMPUTE_PGM_RSRC2:SCRATCH_EN: 0
; COMPUTE_PGM_RSRC2:USER_SGPR: 6
; COMPUTE_PGM_RSRC2:TRAP_HANDLER: 0
; COMPUTE_PGM_RSRC2:TGID_X_EN: 1
; COMPUTE_PGM_RSRC2:TGID_Y_EN: 0
; COMPUTE_PGM_RSRC2:TGID_Z_EN: 0
; COMPUTE_PGM_RSRC2:TIDIG_COMP_CNT: 0
	.type	__hip_cuid_101f7bdc2809d2ef,@object ; @__hip_cuid_101f7bdc2809d2ef
	.section	.bss,"aw",@nobits
	.globl	__hip_cuid_101f7bdc2809d2ef
__hip_cuid_101f7bdc2809d2ef:
	.byte	0                               ; 0x0
	.size	__hip_cuid_101f7bdc2809d2ef, 1

	.ident	"AMD clang version 19.0.0git (https://github.com/RadeonOpenCompute/llvm-project roc-6.4.0 25133 c7fe45cf4b819c5991fe208aaa96edf142730f1d)"
	.section	".note.GNU-stack","",@progbits
	.addrsig
	.addrsig_sym __hip_cuid_101f7bdc2809d2ef
	.amdgpu_metadata
---
amdhsa.kernels:
  - .args:
      - .actual_access:  read_only
        .address_space:  global
        .offset:         0
        .size:           8
        .value_kind:     global_buffer
      - .actual_access:  read_only
        .address_space:  global
        .offset:         8
        .size:           8
        .value_kind:     global_buffer
      - .actual_access:  read_only
        .address_space:  global
        .offset:         16
        .size:           8
        .value_kind:     global_buffer
      - .actual_access:  read_only
        .address_space:  global
        .offset:         24
        .size:           8
        .value_kind:     global_buffer
      - .actual_access:  read_only
        .address_space:  global
        .offset:         32
        .size:           8
        .value_kind:     global_buffer
      - .offset:         40
        .size:           8
        .value_kind:     by_value
      - .address_space:  global
        .offset:         48
        .size:           8
        .value_kind:     global_buffer
      - .address_space:  global
        .offset:         56
        .size:           8
        .value_kind:     global_buffer
      - .address_space:  global
        .offset:         64
        .size:           8
        .value_kind:     global_buffer
      - .address_space:  global
        .offset:         72
        .size:           8
        .value_kind:     global_buffer
      - .offset:         80
        .size:           4
        .value_kind:     by_value
      - .address_space:  global
        .offset:         88
        .size:           8
        .value_kind:     global_buffer
      - .address_space:  global
        .offset:         96
        .size:           8
        .value_kind:     global_buffer
    .group_segment_fixed_size: 3360
    .kernarg_segment_align: 8
    .kernarg_segment_size: 104
    .language:       OpenCL C
    .language_version:
      - 2
      - 0
    .max_flat_workgroup_size: 120
    .name:           bluestein_single_fwd_len84_dim1_half_op_CI_CI
    .private_segment_fixed_size: 0
    .sgpr_count:     24
    .sgpr_spill_count: 0
    .symbol:         bluestein_single_fwd_len84_dim1_half_op_CI_CI.kd
    .uniform_work_group_size: 1
    .uses_dynamic_stack: false
    .vgpr_count:     64
    .vgpr_spill_count: 0
    .wavefront_size: 64
amdhsa.target:   amdgcn-amd-amdhsa--gfx906
amdhsa.version:
  - 1
  - 2
...

	.end_amdgpu_metadata
